;; amdgpu-corpus repo=pytorch/pytorch kind=compiled arch=gfx906 opt=O3
	.amdgcn_target "amdgcn-amd-amdhsa--gfx906"
	.amdhsa_code_object_version 6
	.text
	.p2align	2                               ; -- Begin function _ZN2at6native25elementwise_kernel_helperILb0EZZZNS0_12_GLOBAL__N_130modified_bessel_i1_kernel_cudaERNS_18TensorIteratorBaseEENKUlvE_clEvENKUlvE_clEvEUldE_NS0_6memory8policies11unroll_baseILi256ESt5arrayIPcLm2EE23TrivialOffsetCalculatorILi1EjESF_NS8_15LoadWithoutCastENS8_16StoreWithoutCastELi4ELi1EEEEEvT0_T1_
	.type	_ZN2at6native25elementwise_kernel_helperILb0EZZZNS0_12_GLOBAL__N_130modified_bessel_i1_kernel_cudaERNS_18TensorIteratorBaseEENKUlvE_clEvENKUlvE_clEvEUldE_NS0_6memory8policies11unroll_baseILi256ESt5arrayIPcLm2EE23TrivialOffsetCalculatorILi1EjESF_NS8_15LoadWithoutCastENS8_16StoreWithoutCastELi4ELi1EEEEEvT0_T1_,@function
_ZN2at6native25elementwise_kernel_helperILb0EZZZNS0_12_GLOBAL__N_130modified_bessel_i1_kernel_cudaERNS_18TensorIteratorBaseEENKUlvE_clEvENKUlvE_clEvEUldE_NS0_6memory8policies11unroll_baseILi256ESt5arrayIPcLm2EE23TrivialOffsetCalculatorILi1EjESF_NS8_15LoadWithoutCastENS8_16StoreWithoutCastELi4ELi1EEEEEvT0_T1_: ; @_ZN2at6native25elementwise_kernel_helperILb0EZZZNS0_12_GLOBAL__N_130modified_bessel_i1_kernel_cudaERNS_18TensorIteratorBaseEENKUlvE_clEvENKUlvE_clEvEUldE_NS0_6memory8policies11unroll_baseILi256ESt5arrayIPcLm2EE23TrivialOffsetCalculatorILi1EjESF_NS8_15LoadWithoutCastENS8_16StoreWithoutCastELi4ELi1EEEEEvT0_T1_
; %bb.0:
	s_waitcnt vmcnt(0) expcnt(0) lgkmcnt(0)
	v_and_b32_e32 v22, 0x3ff, v31
	s_lshl_b32 s12, s12, 10
	v_mov_b32_e32 v16, 0
	v_mov_b32_e32 v18, 0
	v_cmp_lt_i32_e64 s[4:5], v22, v4
	v_mov_b32_e32 v17, 0
	v_or_b32_e32 v5, s12, v22
	v_mov_b32_e32 v19, 0
	v_mov_b32_e32 v10, v22
	s_and_saveexec_b64 s[6:7], s[4:5]
	s_cbranch_execz .LBB0_2
; %bb.1:
	v_mov_b32_e32 v6, 0
	v_lshlrev_b64 v[6:7], 3, v[5:6]
	v_add_u32_e32 v10, 0x100, v22
	v_add_co_u32_e32 v6, vcc, v2, v6
	v_addc_co_u32_e32 v7, vcc, v3, v7, vcc
	flat_load_dwordx2 v[18:19], v[6:7]
.LBB0_2:
	s_or_b64 exec, exec, s[6:7]
	v_cmp_lt_i32_e32 vcc, v10, v4
	s_and_saveexec_b64 s[6:7], vcc
	s_cbranch_execz .LBB0_4
; %bb.3:
	v_add_u32_e32 v6, s12, v10
	v_mov_b32_e32 v7, 0
	v_lshlrev_b64 v[6:7], 3, v[6:7]
	v_add_u32_e32 v10, 0x100, v10
	v_add_co_u32_e32 v6, vcc, v2, v6
	v_addc_co_u32_e32 v7, vcc, v3, v7, vcc
	flat_load_dwordx2 v[16:17], v[6:7]
.LBB0_4:
	s_or_b64 exec, exec, s[6:7]
	v_mov_b32_e32 v6, 0
	v_mov_b32_e32 v8, 0
	;; [unrolled: 1-line block ×4, first 2 shown]
	v_cmp_lt_i32_e32 vcc, v10, v4
	s_and_saveexec_b64 s[6:7], vcc
	s_cbranch_execz .LBB0_6
; %bb.5:
	v_add_u32_e32 v8, s12, v10
	v_mov_b32_e32 v9, 0
	v_lshlrev_b64 v[8:9], 3, v[8:9]
	v_add_u32_e32 v10, 0x100, v10
	v_add_co_u32_e32 v8, vcc, v2, v8
	v_addc_co_u32_e32 v9, vcc, v3, v9, vcc
	flat_load_dwordx2 v[8:9], v[8:9]
.LBB0_6:
	s_or_b64 exec, exec, s[6:7]
	v_cmp_lt_i32_e32 vcc, v10, v4
	s_and_saveexec_b64 s[6:7], vcc
	s_cbranch_execz .LBB0_8
; %bb.7:
	v_add_u32_e32 v6, s12, v10
	v_mov_b32_e32 v7, 0
	v_lshlrev_b64 v[6:7], 3, v[6:7]
	v_add_co_u32_e32 v2, vcc, v2, v6
	v_addc_co_u32_e32 v3, vcc, v3, v7, vcc
	flat_load_dwordx2 v[6:7], v[2:3]
.LBB0_8:
	s_or_b64 exec, exec, s[6:7]
	v_mov_b32_e32 v2, 0
	v_mov_b32_e32 v3, v2
	;; [unrolled: 1-line block ×8, first 2 shown]
	s_and_saveexec_b64 s[8:9], s[4:5]
	s_cbranch_execz .LBB0_22
; %bb.9:
	s_mov_b32 s6, 0
	s_mov_b32 s7, 0x40200000
	s_waitcnt vmcnt(0) lgkmcnt(0)
	v_cmp_le_f64_e64 s[6:7], |v[18:19]|, s[6:7]
                                        ; implicit-def: $vgpr2_vgpr3
	s_and_saveexec_b64 s[10:11], s[6:7]
	s_xor_b64 s[6:7], exec, s[10:11]
	s_cbranch_execz .LBB0_15
; %bb.10:
	v_fma_f64 v[2:3], |v[18:19]|, 0.5, -2.0
	v_mov_b32_e32 v10, 0xc38a0576
	v_mov_b32_e32 v11, 0xbc7857d0
	s_mov_b32 s11, 0x3c499f2a
	s_mov_b32 s10, 0xc3c4014
	v_mov_b32_e32 v14, 0xfca7ab0c
	v_mov_b32_e32 v15, 0x3e928af3
	v_cmp_ngt_f64_e32 vcc, 0, v[18:19]
	v_fma_f64 v[10:11], v[2:3], s[10:11], v[10:11]
	s_mov_b32 s11, 0xbc499f2a
	v_fma_f64 v[12:13], v[2:3], v[10:11], s[10:11]
	s_mov_b32 s10, 0xe593bfac
	s_mov_b32 s11, 0x3ca663e3
	v_add_f64 v[12:13], v[12:13], s[10:11]
	s_mov_b32 s10, 0x7e0d1573
	s_mov_b32 s11, 0xbcd3eaaa
	v_fma_f64 v[10:11], v[2:3], v[12:13], -v[10:11]
	v_add_f64 v[10:11], v[10:11], s[10:11]
	s_mov_b32 s10, 0x615290c
	s_mov_b32 s11, 0x3d011d7f
	v_fma_f64 v[12:13], v[2:3], v[10:11], -v[12:13]
	;; [unrolled: 4-line block ×26, first 2 shown]
	v_add_f64 v[2:3], v[2:3], s[10:11]
	s_mov_b32 s10, 0x652b82fe
	s_mov_b32 s11, 0x3ff71547
	v_add_f64 v[2:3], v[2:3], -v[12:13]
	v_mul_f64 v[2:3], v[2:3], 0.5
	v_mul_f64 v[10:11], |v[18:19]|, v[2:3]
	v_mul_f64 v[2:3], |v[18:19]|, s[10:11]
	s_mov_b32 s10, 0xfefa39ef
	s_mov_b32 s11, 0xbfe62e42
	v_rndne_f64_e32 v[2:3], v[2:3]
	v_fma_f64 v[12:13], v[2:3], s[10:11], |v[18:19]|
	s_mov_b32 s10, 0x3b39803f
	s_mov_b32 s11, 0xbc7abc9e
	v_fma_f64 v[12:13], v[2:3], s[10:11], v[12:13]
	s_mov_b32 s10, 0x6a5dcb37
	s_mov_b32 s11, 0x3e5ade15
	v_fma_f64 v[14:15], v[12:13], s[10:11], v[14:15]
	;; [unrolled: 3-line block ×10, first 2 shown]
	v_fma_f64 v[14:15], v[12:13], v[14:15], 1.0
	v_fma_f64 v[12:13], v[12:13], v[14:15], 1.0
	v_cvt_i32_f64_e32 v14, v[2:3]
                                        ; implicit-def: $vgpr2_vgpr3
	s_and_saveexec_b64 s[10:11], vcc
	s_xor_b64 s[10:11], exec, s[10:11]
	s_cbranch_execz .LBB0_12
; %bb.11:
	s_mov_b32 s14, 0
	s_mov_b32 s15, 0x40900000
	v_ldexp_f64 v[2:3], v[12:13], v14
	v_cmp_ngt_f64_e64 vcc, |v[18:19]|, s[14:15]
	v_mov_b32_e32 v12, 0x7ff00000
                                        ; implicit-def: $vgpr14
                                        ; implicit-def: $vgpr18_vgpr19
	v_cndmask_b32_e32 v3, v12, v3, vcc
	v_cndmask_b32_e32 v2, 0, v2, vcc
	v_mul_f64 v[2:3], v[2:3], v[10:11]
                                        ; implicit-def: $vgpr12_vgpr13
                                        ; implicit-def: $vgpr10_vgpr11
.LBB0_12:
	s_andn2_saveexec_b64 s[10:11], s[10:11]
	s_cbranch_execz .LBB0_14
; %bb.13:
	s_mov_b32 s14, 0
	s_mov_b32 s15, 0x40900000
	v_ldexp_f64 v[2:3], -v[12:13], v14
	v_cmp_ngt_f64_e64 vcc, |v[18:19]|, s[14:15]
	v_mov_b32_e32 v12, 0xfff00000
	v_cndmask_b32_e32 v3, v12, v3, vcc
	v_cndmask_b32_e32 v2, 0, v2, vcc
	v_mul_f64 v[2:3], v[2:3], v[10:11]
.LBB0_14:
	s_or_b64 exec, exec, s[10:11]
                                        ; implicit-def: $vgpr18_vgpr19
.LBB0_15:
	s_andn2_saveexec_b64 s[10:11], s[6:7]
	s_cbranch_execz .LBB0_21
; %bb.16:
	s_mov_b32 s6, 0
	v_and_b32_e32 v3, 0x7fffffff, v19
	v_mov_b32_e32 v2, v18
	s_mov_b32 s7, 0x40400000
	v_div_scale_f64 v[10:11], s[14:15], v[2:3], v[2:3], s[6:7]
	v_div_scale_f64 v[2:3], vcc, s[6:7], v[2:3], s[6:7]
	v_mov_b32_e32 v23, 0xfca7ab0c
	v_mov_b32_e32 v24, 0x3e928af3
	v_rcp_f64_e32 v[12:13], v[10:11]
	v_fma_f64 v[14:15], -v[10:11], v[12:13], 1.0
	v_fma_f64 v[12:13], v[12:13], v[14:15], v[12:13]
	v_fma_f64 v[14:15], -v[10:11], v[12:13], 1.0
	v_fma_f64 v[12:13], v[12:13], v[14:15], v[12:13]
	v_mul_f64 v[14:15], v[2:3], v[12:13]
	v_fma_f64 v[2:3], -v[10:11], v[14:15], v[2:3]
	v_mov_b32_e32 v10, 0xea87b950
	v_mov_b32_e32 v11, 0x3c545b8a
	v_div_fmas_f64 v[2:3], v[2:3], v[12:13], v[14:15]
	v_cmp_ngt_f64_e32 vcc, 0, v[18:19]
	v_div_fixup_f64 v[2:3], v[2:3], |v[18:19]|, s[6:7]
	s_mov_b32 s7, 0x3c61556d
	s_mov_b32 s6, 0xb352e8e6
	v_add_f64 v[2:3], v[2:3], -2.0
	v_fma_f64 v[10:11], v[2:3], s[6:7], v[10:11]
	s_mov_b32 s7, 0xbc61556d
	v_fma_f64 v[12:13], v[2:3], v[10:11], s[6:7]
	s_mov_b32 s6, 0xb2532277
	s_mov_b32 s7, 0xbc8acea3
	v_add_f64 v[12:13], v[12:13], s[6:7]
	s_mov_b32 s6, 0x9c773320
	s_mov_b32 s7, 0xbc82806c
	v_fma_f64 v[10:11], v[2:3], v[12:13], -v[10:11]
	v_add_f64 v[10:11], v[10:11], s[6:7]
	s_mov_b32 s6, 0xfceb588a
	s_mov_b32 s7, 0x3cb55915
	v_fma_f64 v[12:13], v[2:3], v[10:11], -v[12:13]
	;; [unrolled: 4-line block ×14, first 2 shown]
	v_add_f64 v[12:13], v[12:13], s[6:7]
	s_mov_b32 s6, 0x652b82fe
	s_mov_b32 s7, 0x3ff71547
	v_mul_f64 v[14:15], |v[18:19]|, s[6:7]
	s_mov_b32 s6, 0x5423dd80
	s_mov_b32 s7, 0xbe0334ca
	v_fma_f64 v[10:11], v[2:3], v[12:13], -v[10:11]
	v_rndne_f64_e32 v[14:15], v[14:15]
	v_add_f64 v[10:11], v[10:11], s[6:7]
	s_mov_b32 s6, 0xfefa39ef
	s_mov_b32 s7, 0xbfe62e42
	v_fma_f64 v[20:21], v[14:15], s[6:7], |v[18:19]|
	s_mov_b32 s6, 0x9ad53528
	s_mov_b32 s7, 0xbe30790b
	v_fma_f64 v[12:13], v[2:3], v[10:11], -v[12:13]
	v_add_f64 v[12:13], v[12:13], s[6:7]
	s_mov_b32 s6, 0x3b39803f
	s_mov_b32 s7, 0xbc7abc9e
	v_fma_f64 v[20:21], v[14:15], s[6:7], v[20:21]
	s_mov_b32 s6, 0x6a5dcb37
	s_mov_b32 s7, 0x3e5ade15
	v_cvt_i32_f64_e32 v14, v[14:15]
	v_fma_f64 v[10:11], v[2:3], v[12:13], -v[10:11]
	v_fma_f64 v[23:24], v[20:21], s[6:7], v[23:24]
	s_mov_b32 s6, 0x94bb46c1
	s_mov_b32 s7, 0xbe5c4153
	v_add_f64 v[10:11], v[10:11], s[6:7]
	s_mov_b32 s6, 0x623fde64
	s_mov_b32 s7, 0x3ec71dee
	v_fma_f64 v[23:24], v[20:21], v[23:24], s[6:7]
	s_mov_b32 s6, 0x7c89e6b0
	s_mov_b32 s7, 0x3efa0199
	v_fma_f64 v[12:13], v[2:3], v[10:11], -v[12:13]
	v_fma_f64 v[23:24], v[20:21], v[23:24], s[6:7]
	s_mov_b32 s6, 0x2e9e5443
	s_mov_b32 s7, 0xbe90dbfd
	v_add_f64 v[12:13], v[12:13], s[6:7]
	s_mov_b32 s6, 0x14761f6e
	s_mov_b32 s7, 0x3f2a01a0
	v_fma_f64 v[23:24], v[20:21], v[23:24], s[6:7]
	s_mov_b32 s6, 0x1852b7b0
	s_mov_b32 s7, 0x3f56c16c
	;; [unrolled: 10-line block ×4, first 2 shown]
	v_fma_f64 v[10:11], v[2:3], v[12:13], -v[10:11]
	v_fma_f64 v[23:24], v[20:21], v[23:24], s[6:7]
	s_mov_b32 s6, 0x53fcdb4c
	s_mov_b32 s7, 0xbf83fda0
	v_add_f64 v[10:11], v[10:11], s[6:7]
	s_mov_b32 s6, 0xb55b1514
	s_mov_b32 s7, 0x3fe8ea18
	v_fma_f64 v[23:24], v[20:21], v[23:24], 1.0
	v_fma_f64 v[2:3], v[2:3], v[10:11], -v[12:13]
	v_fma_f64 v[10:11], v[20:21], v[23:24], 1.0
	v_add_f64 v[2:3], v[2:3], s[6:7]
	s_mov_b32 s6, 0
	s_mov_b32 s7, 0x40900000
	v_ldexp_f64 v[10:11], v[10:11], v14
	v_cmp_ngt_f64_e64 s[6:7], |v[18:19]|, s[6:7]
	v_mov_b32_e32 v14, 0x7ff00000
	v_add_f64 v[12:13], v[2:3], -v[12:13]
                                        ; implicit-def: $vgpr2_vgpr3
	v_cndmask_b32_e64 v11, v14, v11, s[6:7]
	v_cndmask_b32_e64 v10, 0, v10, s[6:7]
	s_and_saveexec_b64 s[6:7], vcc
	s_xor_b64 s[6:7], exec, s[6:7]
	s_cbranch_execz .LBB0_18
; %bb.17:
	s_mov_b32 s14, 0
	s_brev_b32 s15, 8
	v_cmp_lt_f64_e64 vcc, |v[18:19]|, s[14:15]
	v_mov_b32_e32 v2, 0x100
	v_mul_f64 v[12:13], v[12:13], 0.5
	v_cndmask_b32_e32 v2, 0, v2, vcc
	v_ldexp_f64 v[2:3], |v[18:19]|, v2
	v_mul_f64 v[10:11], v[10:11], v[12:13]
	v_rsq_f64_e32 v[14:15], v[2:3]
	v_mul_f64 v[18:19], v[2:3], v[14:15]
	v_mul_f64 v[14:15], v[14:15], 0.5
	v_fma_f64 v[20:21], -v[14:15], v[18:19], 0.5
	v_fma_f64 v[18:19], v[18:19], v[20:21], v[18:19]
	v_fma_f64 v[14:15], v[14:15], v[20:21], v[14:15]
	v_fma_f64 v[20:21], -v[18:19], v[18:19], v[2:3]
	v_fma_f64 v[18:19], v[20:21], v[14:15], v[18:19]
	v_fma_f64 v[20:21], -v[18:19], v[18:19], v[2:3]
	v_fma_f64 v[14:15], v[20:21], v[14:15], v[18:19]
	v_mov_b32_e32 v18, 0xffffff80
	v_mov_b32_e32 v19, 0x260
	v_cndmask_b32_e32 v18, 0, v18, vcc
	v_cmp_class_f64_e32 vcc, v[2:3], v19
	v_ldexp_f64 v[14:15], v[14:15], v18
	v_cndmask_b32_e32 v3, v15, v3, vcc
	v_cndmask_b32_e32 v2, v14, v2, vcc
	v_div_scale_f64 v[12:13], s[14:15], v[2:3], v[2:3], v[10:11]
	v_div_scale_f64 v[20:21], vcc, v[10:11], v[2:3], v[10:11]
	v_rcp_f64_e32 v[14:15], v[12:13]
	v_fma_f64 v[18:19], -v[12:13], v[14:15], 1.0
	v_fma_f64 v[14:15], v[14:15], v[18:19], v[14:15]
	v_fma_f64 v[18:19], -v[12:13], v[14:15], 1.0
	v_fma_f64 v[14:15], v[14:15], v[18:19], v[14:15]
	v_mul_f64 v[18:19], v[20:21], v[14:15]
	v_fma_f64 v[12:13], -v[12:13], v[18:19], v[20:21]
	v_div_fmas_f64 v[12:13], v[12:13], v[14:15], v[18:19]
                                        ; implicit-def: $vgpr18_vgpr19
	v_div_fixup_f64 v[2:3], v[12:13], v[2:3], v[10:11]
                                        ; implicit-def: $vgpr12_vgpr13
                                        ; implicit-def: $vgpr10_vgpr11
.LBB0_18:
	s_andn2_saveexec_b64 s[6:7], s[6:7]
	s_cbranch_execz .LBB0_20
; %bb.19:
	s_mov_b32 s14, 0
	s_brev_b32 s15, 8
	v_cmp_lt_f64_e64 vcc, |v[18:19]|, s[14:15]
	v_mov_b32_e32 v2, 0x100
	v_mul_f64 v[12:13], v[12:13], -0.5
	v_cndmask_b32_e32 v2, 0, v2, vcc
	v_ldexp_f64 v[2:3], |v[18:19]|, v2
	v_mul_f64 v[10:11], v[10:11], v[12:13]
	v_rsq_f64_e32 v[14:15], v[2:3]
	v_mul_f64 v[18:19], v[2:3], v[14:15]
	v_mul_f64 v[14:15], v[14:15], 0.5
	v_fma_f64 v[20:21], -v[14:15], v[18:19], 0.5
	v_fma_f64 v[18:19], v[18:19], v[20:21], v[18:19]
	v_fma_f64 v[14:15], v[14:15], v[20:21], v[14:15]
	v_fma_f64 v[20:21], -v[18:19], v[18:19], v[2:3]
	v_fma_f64 v[18:19], v[20:21], v[14:15], v[18:19]
	v_fma_f64 v[20:21], -v[18:19], v[18:19], v[2:3]
	v_fma_f64 v[14:15], v[20:21], v[14:15], v[18:19]
	v_mov_b32_e32 v18, 0xffffff80
	v_mov_b32_e32 v19, 0x260
	v_cndmask_b32_e32 v18, 0, v18, vcc
	v_cmp_class_f64_e32 vcc, v[2:3], v19
	v_ldexp_f64 v[14:15], v[14:15], v18
	v_cndmask_b32_e32 v3, v15, v3, vcc
	v_cndmask_b32_e32 v2, v14, v2, vcc
	v_div_scale_f64 v[12:13], s[14:15], v[2:3], v[2:3], v[10:11]
	v_div_scale_f64 v[20:21], vcc, v[10:11], v[2:3], v[10:11]
	v_rcp_f64_e32 v[14:15], v[12:13]
	v_fma_f64 v[18:19], -v[12:13], v[14:15], 1.0
	v_fma_f64 v[14:15], v[14:15], v[18:19], v[14:15]
	v_fma_f64 v[18:19], -v[12:13], v[14:15], 1.0
	v_fma_f64 v[14:15], v[14:15], v[18:19], v[14:15]
	v_mul_f64 v[18:19], v[20:21], v[14:15]
	v_fma_f64 v[12:13], -v[12:13], v[18:19], v[20:21]
	v_div_fmas_f64 v[12:13], v[12:13], v[14:15], v[18:19]
	v_div_fixup_f64 v[2:3], v[12:13], v[2:3], v[10:11]
.LBB0_20:
	s_or_b64 exec, exec, s[6:7]
.LBB0_21:
	s_or_b64 exec, exec, s[10:11]
	v_mov_b32_e32 v14, 0
	v_mov_b32_e32 v15, v14
	;; [unrolled: 1-line block ×6, first 2 shown]
.LBB0_22:
	s_or_b64 exec, exec, s[8:9]
	v_add_u32_e32 v23, 0x100, v22
	v_cmp_lt_i32_e32 vcc, v23, v4
	s_and_saveexec_b64 s[8:9], vcc
	s_cbranch_execz .LBB0_36
; %bb.23:
	s_mov_b32 s6, 0
	s_mov_b32 s7, 0x40200000
	s_waitcnt vmcnt(0) lgkmcnt(0)
	v_cmp_le_f64_e64 s[6:7], |v[16:17]|, s[6:7]
	s_and_saveexec_b64 s[10:11], s[6:7]
	s_xor_b64 s[6:7], exec, s[10:11]
                                        ; implicit-def: $vgpr14_vgpr15
	s_cbranch_execz .LBB0_29
; %bb.24:
	v_fma_f64 v[14:15], |v[16:17]|, 0.5, -2.0
	v_mov_b32_e32 v18, 0xc38a0576
	v_mov_b32_e32 v19, 0xbc7857d0
	s_mov_b32 s11, 0x3c499f2a
	s_mov_b32 s10, 0xc3c4014
	v_mov_b32_e32 v24, 0xfca7ab0c
	v_mov_b32_e32 v25, 0x3e928af3
	v_cmp_ngt_f64_e32 vcc, 0, v[16:17]
	v_fma_f64 v[18:19], v[14:15], s[10:11], v[18:19]
	s_mov_b32 s11, 0xbc499f2a
	v_fma_f64 v[20:21], v[14:15], v[18:19], s[10:11]
	s_mov_b32 s10, 0xe593bfac
	s_mov_b32 s11, 0x3ca663e3
	v_add_f64 v[20:21], v[20:21], s[10:11]
	s_mov_b32 s10, 0x7e0d1573
	s_mov_b32 s11, 0xbcd3eaaa
	v_fma_f64 v[18:19], v[14:15], v[20:21], -v[18:19]
	v_add_f64 v[18:19], v[18:19], s[10:11]
	s_mov_b32 s10, 0x615290c
	s_mov_b32 s11, 0x3d011d7f
	v_fma_f64 v[20:21], v[14:15], v[18:19], -v[20:21]
	;; [unrolled: 4-line block ×26, first 2 shown]
	v_add_f64 v[14:15], v[14:15], s[10:11]
	s_mov_b32 s10, 0x652b82fe
	s_mov_b32 s11, 0x3ff71547
	v_add_f64 v[14:15], v[14:15], -v[20:21]
	v_mul_f64 v[14:15], v[14:15], 0.5
	v_mul_f64 v[18:19], |v[16:17]|, v[14:15]
	v_mul_f64 v[14:15], |v[16:17]|, s[10:11]
	s_mov_b32 s10, 0xfefa39ef
	s_mov_b32 s11, 0xbfe62e42
	v_rndne_f64_e32 v[14:15], v[14:15]
	v_fma_f64 v[20:21], v[14:15], s[10:11], |v[16:17]|
	s_mov_b32 s10, 0x3b39803f
	s_mov_b32 s11, 0xbc7abc9e
	v_fma_f64 v[20:21], v[14:15], s[10:11], v[20:21]
	s_mov_b32 s10, 0x6a5dcb37
	s_mov_b32 s11, 0x3e5ade15
	v_fma_f64 v[24:25], v[20:21], s[10:11], v[24:25]
	s_mov_b32 s10, 0x623fde64
	s_mov_b32 s11, 0x3ec71dee
	v_fma_f64 v[24:25], v[20:21], v[24:25], s[10:11]
	s_mov_b32 s10, 0x7c89e6b0
	s_mov_b32 s11, 0x3efa0199
	v_fma_f64 v[24:25], v[20:21], v[24:25], s[10:11]
	s_mov_b32 s10, 0x14761f6e
	s_mov_b32 s11, 0x3f2a01a0
	v_fma_f64 v[24:25], v[20:21], v[24:25], s[10:11]
	s_mov_b32 s10, 0x1852b7b0
	s_mov_b32 s11, 0x3f56c16c
	v_fma_f64 v[24:25], v[20:21], v[24:25], s[10:11]
	s_mov_b32 s10, 0x11122322
	s_mov_b32 s11, 0x3f811111
	v_fma_f64 v[24:25], v[20:21], v[24:25], s[10:11]
	s_mov_b32 s10, 0x555502a1
	s_mov_b32 s11, 0x3fa55555
	v_fma_f64 v[24:25], v[20:21], v[24:25], s[10:11]
	s_mov_b32 s10, 0x55555511
	s_mov_b32 s11, 0x3fc55555
	v_fma_f64 v[24:25], v[20:21], v[24:25], s[10:11]
	s_mov_b32 s10, 11
	s_mov_b32 s11, 0x3fe00000
	v_fma_f64 v[24:25], v[20:21], v[24:25], s[10:11]
	v_fma_f64 v[24:25], v[20:21], v[24:25], 1.0
	v_fma_f64 v[20:21], v[20:21], v[24:25], 1.0
	v_cvt_i32_f64_e32 v24, v[14:15]
	s_and_saveexec_b64 s[10:11], vcc
	s_xor_b64 s[10:11], exec, s[10:11]
                                        ; implicit-def: $vgpr14_vgpr15
	s_cbranch_execz .LBB0_26
; %bb.25:
	s_mov_b32 s14, 0
	s_mov_b32 s15, 0x40900000
	v_ldexp_f64 v[14:15], v[20:21], v24
	v_cmp_ngt_f64_e64 vcc, |v[16:17]|, s[14:15]
	v_mov_b32_e32 v20, 0x7ff00000
                                        ; implicit-def: $vgpr24
                                        ; implicit-def: $vgpr16_vgpr17
	v_cndmask_b32_e32 v15, v20, v15, vcc
	v_cndmask_b32_e32 v14, 0, v14, vcc
	v_mul_f64 v[14:15], v[14:15], v[18:19]
                                        ; implicit-def: $vgpr20_vgpr21
                                        ; implicit-def: $vgpr18_vgpr19
.LBB0_26:
	s_andn2_saveexec_b64 s[10:11], s[10:11]
	s_cbranch_execz .LBB0_28
; %bb.27:
	s_mov_b32 s14, 0
	s_mov_b32 s15, 0x40900000
	v_ldexp_f64 v[14:15], -v[20:21], v24
	v_cmp_ngt_f64_e64 vcc, |v[16:17]|, s[14:15]
	v_mov_b32_e32 v20, 0xfff00000
	v_cndmask_b32_e32 v15, v20, v15, vcc
	v_cndmask_b32_e32 v14, 0, v14, vcc
	v_mul_f64 v[14:15], v[14:15], v[18:19]
.LBB0_28:
	s_or_b64 exec, exec, s[10:11]
                                        ; implicit-def: $vgpr16_vgpr17
.LBB0_29:
	s_andn2_saveexec_b64 s[10:11], s[6:7]
	s_cbranch_execz .LBB0_35
; %bb.30:
	s_mov_b32 s6, 0
	v_and_b32_e32 v15, 0x7fffffff, v17
	v_mov_b32_e32 v14, v16
	s_mov_b32 s7, 0x40400000
	v_div_scale_f64 v[18:19], s[14:15], v[14:15], v[14:15], s[6:7]
	v_div_scale_f64 v[14:15], vcc, s[6:7], v[14:15], s[6:7]
	v_mov_b32_e32 v28, 0xfca7ab0c
	v_mov_b32_e32 v29, 0x3e928af3
	v_rcp_f64_e32 v[20:21], v[18:19]
	v_fma_f64 v[24:25], -v[18:19], v[20:21], 1.0
	v_fma_f64 v[20:21], v[20:21], v[24:25], v[20:21]
	v_fma_f64 v[24:25], -v[18:19], v[20:21], 1.0
	v_fma_f64 v[20:21], v[20:21], v[24:25], v[20:21]
	v_mul_f64 v[24:25], v[14:15], v[20:21]
	v_fma_f64 v[14:15], -v[18:19], v[24:25], v[14:15]
	v_mov_b32_e32 v18, 0xea87b950
	v_mov_b32_e32 v19, 0x3c545b8a
	v_div_fmas_f64 v[14:15], v[14:15], v[20:21], v[24:25]
	v_cmp_ngt_f64_e32 vcc, 0, v[16:17]
	v_div_fixup_f64 v[14:15], v[14:15], |v[16:17]|, s[6:7]
	s_mov_b32 s7, 0x3c61556d
	s_mov_b32 s6, 0xb352e8e6
	v_add_f64 v[14:15], v[14:15], -2.0
	v_fma_f64 v[18:19], v[14:15], s[6:7], v[18:19]
	s_mov_b32 s7, 0xbc61556d
	v_fma_f64 v[20:21], v[14:15], v[18:19], s[6:7]
	s_mov_b32 s6, 0xb2532277
	s_mov_b32 s7, 0xbc8acea3
	v_add_f64 v[20:21], v[20:21], s[6:7]
	s_mov_b32 s6, 0x9c773320
	s_mov_b32 s7, 0xbc82806c
	v_fma_f64 v[18:19], v[14:15], v[20:21], -v[18:19]
	v_add_f64 v[18:19], v[18:19], s[6:7]
	s_mov_b32 s6, 0xfceb588a
	s_mov_b32 s7, 0x3cb55915
	v_fma_f64 v[20:21], v[14:15], v[18:19], -v[20:21]
	;; [unrolled: 4-line block ×14, first 2 shown]
	v_add_f64 v[20:21], v[20:21], s[6:7]
	s_mov_b32 s6, 0x652b82fe
	s_mov_b32 s7, 0x3ff71547
	v_mul_f64 v[24:25], |v[16:17]|, s[6:7]
	s_mov_b32 s6, 0x5423dd80
	s_mov_b32 s7, 0xbe0334ca
	v_fma_f64 v[18:19], v[14:15], v[20:21], -v[18:19]
	v_rndne_f64_e32 v[24:25], v[24:25]
	v_add_f64 v[18:19], v[18:19], s[6:7]
	s_mov_b32 s6, 0xfefa39ef
	s_mov_b32 s7, 0xbfe62e42
	v_fma_f64 v[26:27], v[24:25], s[6:7], |v[16:17]|
	s_mov_b32 s6, 0x9ad53528
	s_mov_b32 s7, 0xbe30790b
	v_fma_f64 v[20:21], v[14:15], v[18:19], -v[20:21]
	v_add_f64 v[20:21], v[20:21], s[6:7]
	s_mov_b32 s6, 0x3b39803f
	s_mov_b32 s7, 0xbc7abc9e
	v_fma_f64 v[26:27], v[24:25], s[6:7], v[26:27]
	s_mov_b32 s6, 0x6a5dcb37
	s_mov_b32 s7, 0x3e5ade15
	v_cvt_i32_f64_e32 v24, v[24:25]
	v_fma_f64 v[18:19], v[14:15], v[20:21], -v[18:19]
	v_fma_f64 v[28:29], v[26:27], s[6:7], v[28:29]
	s_mov_b32 s6, 0x94bb46c1
	s_mov_b32 s7, 0xbe5c4153
	v_add_f64 v[18:19], v[18:19], s[6:7]
	s_mov_b32 s6, 0x623fde64
	s_mov_b32 s7, 0x3ec71dee
	v_fma_f64 v[28:29], v[26:27], v[28:29], s[6:7]
	s_mov_b32 s6, 0x7c89e6b0
	s_mov_b32 s7, 0x3efa0199
	v_fma_f64 v[20:21], v[14:15], v[18:19], -v[20:21]
	v_fma_f64 v[28:29], v[26:27], v[28:29], s[6:7]
	s_mov_b32 s6, 0x2e9e5443
	s_mov_b32 s7, 0xbe90dbfd
	v_add_f64 v[20:21], v[20:21], s[6:7]
	s_mov_b32 s6, 0x14761f6e
	s_mov_b32 s7, 0x3f2a01a0
	v_fma_f64 v[28:29], v[26:27], v[28:29], s[6:7]
	s_mov_b32 s6, 0x1852b7b0
	s_mov_b32 s7, 0x3f56c16c
	;; [unrolled: 10-line block ×4, first 2 shown]
	v_fma_f64 v[18:19], v[14:15], v[20:21], -v[18:19]
	v_fma_f64 v[28:29], v[26:27], v[28:29], s[6:7]
	s_mov_b32 s6, 0x53fcdb4c
	s_mov_b32 s7, 0xbf83fda0
	v_add_f64 v[18:19], v[18:19], s[6:7]
	s_mov_b32 s6, 0xb55b1514
	s_mov_b32 s7, 0x3fe8ea18
	v_fma_f64 v[28:29], v[26:27], v[28:29], 1.0
	v_fma_f64 v[14:15], v[14:15], v[18:19], -v[20:21]
	v_fma_f64 v[18:19], v[26:27], v[28:29], 1.0
	v_add_f64 v[14:15], v[14:15], s[6:7]
	s_mov_b32 s6, 0
	s_mov_b32 s7, 0x40900000
	v_ldexp_f64 v[18:19], v[18:19], v24
	v_cmp_ngt_f64_e64 s[6:7], |v[16:17]|, s[6:7]
	v_mov_b32_e32 v24, 0x7ff00000
	v_add_f64 v[20:21], v[14:15], -v[20:21]
	v_cndmask_b32_e64 v19, v24, v19, s[6:7]
	v_cndmask_b32_e64 v18, 0, v18, s[6:7]
	s_and_saveexec_b64 s[6:7], vcc
	s_xor_b64 s[6:7], exec, s[6:7]
                                        ; implicit-def: $vgpr14_vgpr15
	s_cbranch_execz .LBB0_32
; %bb.31:
	s_mov_b32 s14, 0
	s_brev_b32 s15, 8
	v_cmp_lt_f64_e64 vcc, |v[16:17]|, s[14:15]
	v_mov_b32_e32 v14, 0x100
	v_mul_f64 v[20:21], v[20:21], 0.5
	v_cndmask_b32_e32 v14, 0, v14, vcc
	v_ldexp_f64 v[14:15], |v[16:17]|, v14
	v_mul_f64 v[18:19], v[18:19], v[20:21]
	v_rsq_f64_e32 v[16:17], v[14:15]
	v_mul_f64 v[24:25], v[14:15], v[16:17]
	v_mul_f64 v[16:17], v[16:17], 0.5
	v_fma_f64 v[26:27], -v[16:17], v[24:25], 0.5
	v_fma_f64 v[24:25], v[24:25], v[26:27], v[24:25]
	v_fma_f64 v[16:17], v[16:17], v[26:27], v[16:17]
	v_fma_f64 v[26:27], -v[24:25], v[24:25], v[14:15]
	v_fma_f64 v[24:25], v[26:27], v[16:17], v[24:25]
	v_fma_f64 v[26:27], -v[24:25], v[24:25], v[14:15]
	v_fma_f64 v[16:17], v[26:27], v[16:17], v[24:25]
	v_mov_b32_e32 v24, 0xffffff80
	v_mov_b32_e32 v25, 0x260
	v_cndmask_b32_e32 v24, 0, v24, vcc
	v_cmp_class_f64_e32 vcc, v[14:15], v25
	v_ldexp_f64 v[16:17], v[16:17], v24
	v_cndmask_b32_e32 v15, v17, v15, vcc
	v_cndmask_b32_e32 v14, v16, v14, vcc
	v_div_scale_f64 v[16:17], s[14:15], v[14:15], v[14:15], v[18:19]
	v_div_scale_f64 v[26:27], vcc, v[18:19], v[14:15], v[18:19]
	v_rcp_f64_e32 v[20:21], v[16:17]
	v_fma_f64 v[24:25], -v[16:17], v[20:21], 1.0
	v_fma_f64 v[20:21], v[20:21], v[24:25], v[20:21]
	v_fma_f64 v[24:25], -v[16:17], v[20:21], 1.0
	v_fma_f64 v[20:21], v[20:21], v[24:25], v[20:21]
	v_mul_f64 v[24:25], v[26:27], v[20:21]
	v_fma_f64 v[16:17], -v[16:17], v[24:25], v[26:27]
	v_div_fmas_f64 v[16:17], v[16:17], v[20:21], v[24:25]
                                        ; implicit-def: $vgpr20_vgpr21
	v_div_fixup_f64 v[14:15], v[16:17], v[14:15], v[18:19]
                                        ; implicit-def: $vgpr16_vgpr17
                                        ; implicit-def: $vgpr18_vgpr19
.LBB0_32:
	s_andn2_saveexec_b64 s[6:7], s[6:7]
	s_cbranch_execz .LBB0_34
; %bb.33:
	s_mov_b32 s14, 0
	s_brev_b32 s15, 8
	v_cmp_lt_f64_e64 vcc, |v[16:17]|, s[14:15]
	v_mov_b32_e32 v14, 0x100
	v_mul_f64 v[20:21], v[20:21], -0.5
	v_cndmask_b32_e32 v14, 0, v14, vcc
	v_ldexp_f64 v[14:15], |v[16:17]|, v14
	v_mul_f64 v[18:19], v[18:19], v[20:21]
	v_rsq_f64_e32 v[16:17], v[14:15]
	v_mul_f64 v[24:25], v[14:15], v[16:17]
	v_mul_f64 v[16:17], v[16:17], 0.5
	v_fma_f64 v[26:27], -v[16:17], v[24:25], 0.5
	v_fma_f64 v[24:25], v[24:25], v[26:27], v[24:25]
	v_fma_f64 v[16:17], v[16:17], v[26:27], v[16:17]
	v_fma_f64 v[26:27], -v[24:25], v[24:25], v[14:15]
	v_fma_f64 v[24:25], v[26:27], v[16:17], v[24:25]
	v_fma_f64 v[26:27], -v[24:25], v[24:25], v[14:15]
	v_fma_f64 v[16:17], v[26:27], v[16:17], v[24:25]
	v_mov_b32_e32 v24, 0xffffff80
	v_mov_b32_e32 v25, 0x260
	v_cndmask_b32_e32 v24, 0, v24, vcc
	v_cmp_class_f64_e32 vcc, v[14:15], v25
	v_ldexp_f64 v[16:17], v[16:17], v24
	v_cndmask_b32_e32 v15, v17, v15, vcc
	v_cndmask_b32_e32 v14, v16, v14, vcc
	v_div_scale_f64 v[16:17], s[14:15], v[14:15], v[14:15], v[18:19]
	v_div_scale_f64 v[26:27], vcc, v[18:19], v[14:15], v[18:19]
	v_rcp_f64_e32 v[20:21], v[16:17]
	v_fma_f64 v[24:25], -v[16:17], v[20:21], 1.0
	v_fma_f64 v[20:21], v[20:21], v[24:25], v[20:21]
	v_fma_f64 v[24:25], -v[16:17], v[20:21], 1.0
	v_fma_f64 v[20:21], v[20:21], v[24:25], v[20:21]
	v_mul_f64 v[24:25], v[26:27], v[20:21]
	v_fma_f64 v[16:17], -v[16:17], v[24:25], v[26:27]
	v_div_fmas_f64 v[16:17], v[16:17], v[20:21], v[24:25]
	v_div_fixup_f64 v[14:15], v[16:17], v[14:15], v[18:19]
.LBB0_34:
	s_or_b64 exec, exec, s[6:7]
.LBB0_35:
	s_or_b64 exec, exec, s[10:11]
.LBB0_36:
	s_or_b64 exec, exec, s[8:9]
	s_waitcnt vmcnt(0) lgkmcnt(0)
	v_add_u32_e32 v16, 0x200, v22
	v_cmp_lt_i32_e32 vcc, v16, v4
	s_and_saveexec_b64 s[8:9], vcc
	s_cbranch_execz .LBB0_50
; %bb.37:
	s_mov_b32 s6, 0
	s_mov_b32 s7, 0x40200000
	v_cmp_le_f64_e64 s[6:7], |v[8:9]|, s[6:7]
	s_and_saveexec_b64 s[10:11], s[6:7]
	s_xor_b64 s[6:7], exec, s[10:11]
                                        ; implicit-def: $vgpr12_vgpr13
	s_cbranch_execz .LBB0_43
; %bb.38:
	v_fma_f64 v[12:13], |v[8:9]|, 0.5, -2.0
	v_mov_b32_e32 v16, 0xc38a0576
	v_mov_b32_e32 v17, 0xbc7857d0
	s_mov_b32 s11, 0x3c499f2a
	s_mov_b32 s10, 0xc3c4014
	s_mov_b32 s14, 0x3b39803f
	s_mov_b32 s15, 0xbc7abc9e
	v_mov_b32_e32 v26, 0xfca7ab0c
	v_fma_f64 v[16:17], v[12:13], s[10:11], v[16:17]
	s_mov_b32 s11, 0xbc499f2a
	v_mov_b32_e32 v27, 0x3e928af3
	v_cmp_ngt_f64_e32 vcc, 0, v[8:9]
	v_fma_f64 v[18:19], v[12:13], v[16:17], s[10:11]
	s_mov_b32 s10, 0xe593bfac
	s_mov_b32 s11, 0x3ca663e3
	v_add_f64 v[18:19], v[18:19], s[10:11]
	s_mov_b32 s10, 0x7e0d1573
	s_mov_b32 s11, 0xbcd3eaaa
	v_fma_f64 v[16:17], v[12:13], v[18:19], -v[16:17]
	v_add_f64 v[16:17], v[16:17], s[10:11]
	s_mov_b32 s10, 0x615290c
	s_mov_b32 s11, 0x3d011d7f
	v_fma_f64 v[18:19], v[12:13], v[16:17], -v[18:19]
	;; [unrolled: 4-line block ×20, first 2 shown]
	v_add_f64 v[18:19], v[18:19], s[10:11]
	s_mov_b32 s10, 0x652b82fe
	s_mov_b32 s11, 0x3ff71547
	v_mul_f64 v[20:21], |v[8:9]|, s[10:11]
	s_mov_b32 s10, 0x7913a26a
	s_mov_b32 s11, 0xbf85a29f
	v_fma_f64 v[16:17], v[12:13], v[18:19], -v[16:17]
	v_rndne_f64_e32 v[20:21], v[20:21]
	v_add_f64 v[16:17], v[16:17], s[10:11]
	s_mov_b32 s10, 0xfefa39ef
	s_mov_b32 s11, 0xbfe62e42
	v_fma_f64 v[24:25], v[20:21], s[10:11], |v[8:9]|
	s_mov_b32 s10, 0xe7bb2349
	s_mov_b32 s11, 0x3f9951e3
	v_fma_f64 v[18:19], v[12:13], v[16:17], -v[18:19]
	v_fma_f64 v[24:25], v[20:21], s[14:15], v[24:25]
	s_mov_b32 s14, 0x623fde64
	s_mov_b32 s15, 0x3ec71dee
	v_cvt_i32_f64_e32 v20, v[20:21]
	v_add_f64 v[18:19], v[18:19], s[10:11]
	s_mov_b32 s10, 0x6a5dcb37
	s_mov_b32 s11, 0x3e5ade15
	v_fma_f64 v[26:27], v[24:25], s[10:11], v[26:27]
	s_mov_b32 s10, 0x537c9ebc
	s_mov_b32 s11, 0xbfab1bbc
	v_fma_f64 v[16:17], v[12:13], v[18:19], -v[16:17]
	v_fma_f64 v[26:27], v[24:25], v[26:27], s[14:15]
	s_mov_b32 s14, 0x14761f6e
	s_mov_b32 s15, 0x3f2a01a0
	v_add_f64 v[16:17], v[16:17], s[10:11]
	s_mov_b32 s10, 0x7c89e6b0
	s_mov_b32 s11, 0x3efa0199
	v_fma_f64 v[26:27], v[24:25], v[26:27], s[10:11]
	s_mov_b32 s10, 0xd536f53c
	s_mov_b32 s11, 0x3fba46da
	v_fma_f64 v[18:19], v[12:13], v[16:17], -v[18:19]
	v_fma_f64 v[26:27], v[24:25], v[26:27], s[14:15]
	s_mov_b32 s14, 0x11122322
	s_mov_b32 s15, 0x3f811111
	;; [unrolled: 10-line block ×3, first 2 shown]
	v_add_f64 v[16:17], v[16:17], s[10:11]
	s_mov_b32 s10, 0x555502a1
	s_mov_b32 s11, 0x3fa55555
	v_fma_f64 v[12:13], v[12:13], v[16:17], -v[18:19]
	v_fma_f64 v[16:17], v[24:25], v[26:27], s[10:11]
	s_mov_b32 s10, 0x724a7ffa
	s_mov_b32 s11, 0x3fd02a63
	v_add_f64 v[12:13], v[12:13], s[10:11]
	v_fma_f64 v[16:17], v[24:25], v[16:17], s[14:15]
	s_mov_b32 s10, 11
	s_mov_b32 s11, 0x3fe00000
	v_add_f64 v[12:13], v[12:13], -v[18:19]
	v_fma_f64 v[16:17], v[24:25], v[16:17], s[10:11]
	v_mul_f64 v[12:13], v[12:13], 0.5
	v_fma_f64 v[18:19], v[24:25], v[16:17], 1.0
	v_mul_f64 v[16:17], |v[8:9]|, v[12:13]
	v_fma_f64 v[18:19], v[24:25], v[18:19], 1.0
	s_and_saveexec_b64 s[10:11], vcc
	s_xor_b64 s[10:11], exec, s[10:11]
                                        ; implicit-def: $vgpr12_vgpr13
	s_cbranch_execz .LBB0_40
; %bb.39:
	s_mov_b32 s14, 0
	s_mov_b32 s15, 0x40900000
	v_ldexp_f64 v[12:13], v[18:19], v20
	v_cmp_ngt_f64_e64 vcc, |v[8:9]|, s[14:15]
	v_mov_b32_e32 v18, 0x7ff00000
                                        ; implicit-def: $vgpr20
	v_cndmask_b32_e32 v9, v18, v13, vcc
	v_cndmask_b32_e32 v8, 0, v12, vcc
	v_mul_f64 v[12:13], v[8:9], v[16:17]
                                        ; implicit-def: $vgpr18_vgpr19
                                        ; implicit-def: $vgpr8_vgpr9
                                        ; implicit-def: $vgpr16_vgpr17
.LBB0_40:
	s_andn2_saveexec_b64 s[10:11], s[10:11]
	s_cbranch_execz .LBB0_42
; %bb.41:
	s_mov_b32 s14, 0
	s_mov_b32 s15, 0x40900000
	v_ldexp_f64 v[12:13], -v[18:19], v20
	v_cmp_ngt_f64_e64 vcc, |v[8:9]|, s[14:15]
	v_mov_b32_e32 v18, 0xfff00000
	v_cndmask_b32_e32 v9, v18, v13, vcc
	v_cndmask_b32_e32 v8, 0, v12, vcc
	v_mul_f64 v[12:13], v[8:9], v[16:17]
.LBB0_42:
	s_or_b64 exec, exec, s[10:11]
                                        ; implicit-def: $vgpr8_vgpr9
.LBB0_43:
	s_andn2_saveexec_b64 s[10:11], s[6:7]
	s_cbranch_execz .LBB0_49
; %bb.44:
	s_mov_b32 s6, 0
	v_and_b32_e32 v13, 0x7fffffff, v9
	v_mov_b32_e32 v12, v8
	s_mov_b32 s7, 0x40400000
	v_div_scale_f64 v[16:17], s[14:15], v[12:13], v[12:13], s[6:7]
	v_div_scale_f64 v[12:13], vcc, s[6:7], v[12:13], s[6:7]
	v_mov_b32_e32 v26, 0xfca7ab0c
	v_mov_b32_e32 v27, 0x3e928af3
	v_rcp_f64_e32 v[18:19], v[16:17]
	v_fma_f64 v[20:21], -v[16:17], v[18:19], 1.0
	v_fma_f64 v[18:19], v[18:19], v[20:21], v[18:19]
	v_fma_f64 v[20:21], -v[16:17], v[18:19], 1.0
	v_fma_f64 v[18:19], v[18:19], v[20:21], v[18:19]
	v_mul_f64 v[20:21], v[12:13], v[18:19]
	v_fma_f64 v[12:13], -v[16:17], v[20:21], v[12:13]
	v_mov_b32_e32 v16, 0xea87b950
	v_mov_b32_e32 v17, 0x3c545b8a
	v_div_fmas_f64 v[12:13], v[12:13], v[18:19], v[20:21]
	v_cmp_ngt_f64_e32 vcc, 0, v[8:9]
	v_div_fixup_f64 v[12:13], v[12:13], |v[8:9]|, s[6:7]
	s_mov_b32 s7, 0x3c61556d
	s_mov_b32 s6, 0xb352e8e6
	v_add_f64 v[12:13], v[12:13], -2.0
	v_fma_f64 v[16:17], v[12:13], s[6:7], v[16:17]
	s_mov_b32 s7, 0xbc61556d
	v_fma_f64 v[18:19], v[12:13], v[16:17], s[6:7]
	s_mov_b32 s6, 0xb2532277
	s_mov_b32 s7, 0xbc8acea3
	v_add_f64 v[18:19], v[18:19], s[6:7]
	s_mov_b32 s6, 0x9c773320
	s_mov_b32 s7, 0xbc82806c
	v_fma_f64 v[16:17], v[12:13], v[18:19], -v[16:17]
	v_add_f64 v[16:17], v[16:17], s[6:7]
	s_mov_b32 s6, 0xfceb588a
	s_mov_b32 s7, 0x3cb55915
	v_fma_f64 v[18:19], v[12:13], v[16:17], -v[18:19]
	;; [unrolled: 4-line block ×14, first 2 shown]
	v_add_f64 v[18:19], v[18:19], s[6:7]
	s_mov_b32 s6, 0x652b82fe
	s_mov_b32 s7, 0x3ff71547
	v_mul_f64 v[20:21], |v[8:9]|, s[6:7]
	s_mov_b32 s6, 0x5423dd80
	s_mov_b32 s7, 0xbe0334ca
	v_fma_f64 v[16:17], v[12:13], v[18:19], -v[16:17]
	v_rndne_f64_e32 v[20:21], v[20:21]
	v_add_f64 v[16:17], v[16:17], s[6:7]
	s_mov_b32 s6, 0xfefa39ef
	s_mov_b32 s7, 0xbfe62e42
	v_fma_f64 v[24:25], v[20:21], s[6:7], |v[8:9]|
	s_mov_b32 s6, 0x9ad53528
	s_mov_b32 s7, 0xbe30790b
	v_fma_f64 v[18:19], v[12:13], v[16:17], -v[18:19]
	v_add_f64 v[18:19], v[18:19], s[6:7]
	s_mov_b32 s6, 0x3b39803f
	s_mov_b32 s7, 0xbc7abc9e
	v_fma_f64 v[24:25], v[20:21], s[6:7], v[24:25]
	s_mov_b32 s6, 0x6a5dcb37
	s_mov_b32 s7, 0x3e5ade15
	v_cvt_i32_f64_e32 v20, v[20:21]
	v_fma_f64 v[16:17], v[12:13], v[18:19], -v[16:17]
	v_fma_f64 v[26:27], v[24:25], s[6:7], v[26:27]
	s_mov_b32 s6, 0x94bb46c1
	s_mov_b32 s7, 0xbe5c4153
	v_add_f64 v[16:17], v[16:17], s[6:7]
	s_mov_b32 s6, 0x623fde64
	s_mov_b32 s7, 0x3ec71dee
	v_fma_f64 v[26:27], v[24:25], v[26:27], s[6:7]
	s_mov_b32 s6, 0x7c89e6b0
	s_mov_b32 s7, 0x3efa0199
	v_fma_f64 v[18:19], v[12:13], v[16:17], -v[18:19]
	v_fma_f64 v[26:27], v[24:25], v[26:27], s[6:7]
	s_mov_b32 s6, 0x2e9e5443
	s_mov_b32 s7, 0xbe90dbfd
	v_add_f64 v[18:19], v[18:19], s[6:7]
	s_mov_b32 s6, 0x14761f6e
	s_mov_b32 s7, 0x3f2a01a0
	v_fma_f64 v[26:27], v[24:25], v[26:27], s[6:7]
	s_mov_b32 s6, 0x1852b7b0
	s_mov_b32 s7, 0x3f56c16c
	;; [unrolled: 10-line block ×4, first 2 shown]
	v_fma_f64 v[16:17], v[12:13], v[18:19], -v[16:17]
	v_fma_f64 v[26:27], v[24:25], v[26:27], s[6:7]
	s_mov_b32 s6, 0x53fcdb4c
	s_mov_b32 s7, 0xbf83fda0
	v_add_f64 v[16:17], v[16:17], s[6:7]
	s_mov_b32 s6, 0xb55b1514
	s_mov_b32 s7, 0x3fe8ea18
	v_fma_f64 v[26:27], v[24:25], v[26:27], 1.0
	v_fma_f64 v[12:13], v[12:13], v[16:17], -v[18:19]
	v_fma_f64 v[16:17], v[24:25], v[26:27], 1.0
	v_add_f64 v[12:13], v[12:13], s[6:7]
	s_mov_b32 s6, 0
	s_mov_b32 s7, 0x40900000
	v_ldexp_f64 v[16:17], v[16:17], v20
	v_cmp_ngt_f64_e64 s[6:7], |v[8:9]|, s[6:7]
	v_mov_b32_e32 v20, 0x7ff00000
	v_add_f64 v[18:19], v[12:13], -v[18:19]
	v_cndmask_b32_e64 v17, v20, v17, s[6:7]
	v_cndmask_b32_e64 v16, 0, v16, s[6:7]
	s_and_saveexec_b64 s[6:7], vcc
	s_xor_b64 s[6:7], exec, s[6:7]
                                        ; implicit-def: $vgpr12_vgpr13
	s_cbranch_execz .LBB0_46
; %bb.45:
	s_mov_b32 s14, 0
	s_brev_b32 s15, 8
	v_cmp_lt_f64_e64 vcc, |v[8:9]|, s[14:15]
	v_mov_b32_e32 v12, 0x100
	v_mul_f64 v[18:19], v[18:19], 0.5
	v_cndmask_b32_e32 v12, 0, v12, vcc
	v_ldexp_f64 v[8:9], |v[8:9]|, v12
	v_mul_f64 v[16:17], v[16:17], v[18:19]
	v_rsq_f64_e32 v[12:13], v[8:9]
	v_mul_f64 v[20:21], v[8:9], v[12:13]
	v_mul_f64 v[12:13], v[12:13], 0.5
	v_fma_f64 v[24:25], -v[12:13], v[20:21], 0.5
	v_fma_f64 v[20:21], v[20:21], v[24:25], v[20:21]
	v_fma_f64 v[12:13], v[12:13], v[24:25], v[12:13]
	v_fma_f64 v[24:25], -v[20:21], v[20:21], v[8:9]
	v_fma_f64 v[20:21], v[24:25], v[12:13], v[20:21]
	v_fma_f64 v[24:25], -v[20:21], v[20:21], v[8:9]
	v_fma_f64 v[12:13], v[24:25], v[12:13], v[20:21]
	v_mov_b32_e32 v20, 0xffffff80
	v_mov_b32_e32 v21, 0x260
	v_cndmask_b32_e32 v20, 0, v20, vcc
	v_cmp_class_f64_e32 vcc, v[8:9], v21
	v_ldexp_f64 v[12:13], v[12:13], v20
	v_cndmask_b32_e32 v9, v13, v9, vcc
	v_cndmask_b32_e32 v8, v12, v8, vcc
	v_div_scale_f64 v[12:13], s[14:15], v[8:9], v[8:9], v[16:17]
	v_div_scale_f64 v[24:25], vcc, v[16:17], v[8:9], v[16:17]
	v_rcp_f64_e32 v[18:19], v[12:13]
	v_fma_f64 v[20:21], -v[12:13], v[18:19], 1.0
	v_fma_f64 v[18:19], v[18:19], v[20:21], v[18:19]
	v_fma_f64 v[20:21], -v[12:13], v[18:19], 1.0
	v_fma_f64 v[18:19], v[18:19], v[20:21], v[18:19]
	v_mul_f64 v[20:21], v[24:25], v[18:19]
	v_fma_f64 v[12:13], -v[12:13], v[20:21], v[24:25]
	v_div_fmas_f64 v[12:13], v[12:13], v[18:19], v[20:21]
                                        ; implicit-def: $vgpr18_vgpr19
	v_div_fixup_f64 v[12:13], v[12:13], v[8:9], v[16:17]
                                        ; implicit-def: $vgpr8_vgpr9
                                        ; implicit-def: $vgpr16_vgpr17
.LBB0_46:
	s_andn2_saveexec_b64 s[6:7], s[6:7]
	s_cbranch_execz .LBB0_48
; %bb.47:
	s_mov_b32 s14, 0
	s_brev_b32 s15, 8
	v_cmp_lt_f64_e64 vcc, |v[8:9]|, s[14:15]
	v_mov_b32_e32 v12, 0x100
	v_mul_f64 v[18:19], v[18:19], -0.5
	v_cndmask_b32_e32 v12, 0, v12, vcc
	v_ldexp_f64 v[8:9], |v[8:9]|, v12
	v_mul_f64 v[16:17], v[16:17], v[18:19]
	v_rsq_f64_e32 v[12:13], v[8:9]
	v_mul_f64 v[20:21], v[8:9], v[12:13]
	v_mul_f64 v[12:13], v[12:13], 0.5
	v_fma_f64 v[24:25], -v[12:13], v[20:21], 0.5
	v_fma_f64 v[20:21], v[20:21], v[24:25], v[20:21]
	v_fma_f64 v[12:13], v[12:13], v[24:25], v[12:13]
	v_fma_f64 v[24:25], -v[20:21], v[20:21], v[8:9]
	v_fma_f64 v[20:21], v[24:25], v[12:13], v[20:21]
	v_fma_f64 v[24:25], -v[20:21], v[20:21], v[8:9]
	v_fma_f64 v[12:13], v[24:25], v[12:13], v[20:21]
	v_mov_b32_e32 v20, 0xffffff80
	v_mov_b32_e32 v21, 0x260
	v_cndmask_b32_e32 v20, 0, v20, vcc
	v_cmp_class_f64_e32 vcc, v[8:9], v21
	v_ldexp_f64 v[12:13], v[12:13], v20
	v_cndmask_b32_e32 v9, v13, v9, vcc
	v_cndmask_b32_e32 v8, v12, v8, vcc
	v_div_scale_f64 v[12:13], s[14:15], v[8:9], v[8:9], v[16:17]
	v_div_scale_f64 v[24:25], vcc, v[16:17], v[8:9], v[16:17]
	v_rcp_f64_e32 v[18:19], v[12:13]
	v_fma_f64 v[20:21], -v[12:13], v[18:19], 1.0
	v_fma_f64 v[18:19], v[18:19], v[20:21], v[18:19]
	v_fma_f64 v[20:21], -v[12:13], v[18:19], 1.0
	v_fma_f64 v[18:19], v[18:19], v[20:21], v[18:19]
	v_mul_f64 v[20:21], v[24:25], v[18:19]
	v_fma_f64 v[12:13], -v[12:13], v[20:21], v[24:25]
	v_div_fmas_f64 v[12:13], v[12:13], v[18:19], v[20:21]
	v_div_fixup_f64 v[12:13], v[12:13], v[8:9], v[16:17]
.LBB0_48:
	s_or_b64 exec, exec, s[6:7]
.LBB0_49:
	s_or_b64 exec, exec, s[10:11]
.LBB0_50:
	s_or_b64 exec, exec, s[8:9]
	v_add_u32_e32 v8, 0x300, v22
	v_cmp_lt_i32_e32 vcc, v8, v4
	s_and_saveexec_b64 s[8:9], vcc
	s_cbranch_execnz .LBB0_56
; %bb.51:
	s_or_b64 exec, exec, s[8:9]
	s_and_saveexec_b64 s[6:7], s[4:5]
	s_xor_b64 s[4:5], exec, s[6:7]
	s_cbranch_execnz .LBB0_69
.LBB0_52:
	s_or_b64 exec, exec, s[4:5]
	v_cmp_lt_i32_e32 vcc, v22, v4
	s_and_saveexec_b64 s[4:5], vcc
	s_cbranch_execnz .LBB0_70
.LBB0_53:
	s_or_b64 exec, exec, s[4:5]
	v_cmp_lt_i32_e32 vcc, v22, v4
	s_and_saveexec_b64 s[4:5], vcc
	s_cbranch_execnz .LBB0_71
.LBB0_54:
	s_or_b64 exec, exec, s[4:5]
	v_cmp_lt_i32_e32 vcc, v22, v4
	s_and_saveexec_b64 s[4:5], vcc
	s_cbranch_execnz .LBB0_72
.LBB0_55:
	s_or_b64 exec, exec, s[4:5]
	s_waitcnt vmcnt(0) lgkmcnt(0)
	s_setpc_b64 s[30:31]
.LBB0_56:
	s_mov_b32 s6, 0
	s_mov_b32 s7, 0x40200000
	v_cmp_le_f64_e64 s[6:7], |v[6:7]|, s[6:7]
	s_and_saveexec_b64 s[10:11], s[6:7]
	s_xor_b64 s[6:7], exec, s[10:11]
                                        ; implicit-def: $vgpr10_vgpr11
	s_cbranch_execz .LBB0_62
; %bb.57:
	v_fma_f64 v[8:9], |v[6:7]|, 0.5, -2.0
	v_mov_b32_e32 v10, 0xc38a0576
	v_mov_b32_e32 v11, 0xbc7857d0
	s_mov_b32 s11, 0x3c499f2a
	s_mov_b32 s10, 0xc3c4014
	;; [unrolled: 1-line block ×4, first 2 shown]
	v_mov_b32_e32 v24, 0xfca7ab0c
	v_fma_f64 v[10:11], v[8:9], s[10:11], v[10:11]
	s_mov_b32 s11, 0xbc499f2a
	v_mov_b32_e32 v25, 0x3e928af3
	v_cmp_ngt_f64_e32 vcc, 0, v[6:7]
	v_fma_f64 v[16:17], v[8:9], v[10:11], s[10:11]
	s_mov_b32 s10, 0xe593bfac
	s_mov_b32 s11, 0x3ca663e3
	v_add_f64 v[16:17], v[16:17], s[10:11]
	s_mov_b32 s10, 0x7e0d1573
	s_mov_b32 s11, 0xbcd3eaaa
	v_fma_f64 v[10:11], v[8:9], v[16:17], -v[10:11]
	v_add_f64 v[10:11], v[10:11], s[10:11]
	s_mov_b32 s10, 0x615290c
	s_mov_b32 s11, 0x3d011d7f
	v_fma_f64 v[16:17], v[8:9], v[10:11], -v[16:17]
	;; [unrolled: 4-line block ×20, first 2 shown]
	v_add_f64 v[16:17], v[16:17], s[10:11]
	s_mov_b32 s10, 0x652b82fe
	s_mov_b32 s11, 0x3ff71547
	v_mul_f64 v[18:19], |v[6:7]|, s[10:11]
	s_mov_b32 s10, 0x7913a26a
	s_mov_b32 s11, 0xbf85a29f
	v_fma_f64 v[10:11], v[8:9], v[16:17], -v[10:11]
	v_rndne_f64_e32 v[18:19], v[18:19]
	v_add_f64 v[10:11], v[10:11], s[10:11]
	s_mov_b32 s10, 0xfefa39ef
	s_mov_b32 s11, 0xbfe62e42
	v_fma_f64 v[20:21], v[18:19], s[10:11], |v[6:7]|
	s_mov_b32 s10, 0xe7bb2349
	s_mov_b32 s11, 0x3f9951e3
	v_fma_f64 v[16:17], v[8:9], v[10:11], -v[16:17]
	v_fma_f64 v[20:21], v[18:19], s[14:15], v[20:21]
	s_mov_b32 s14, 0x623fde64
	s_mov_b32 s15, 0x3ec71dee
	v_cvt_i32_f64_e32 v18, v[18:19]
	v_add_f64 v[16:17], v[16:17], s[10:11]
	s_mov_b32 s10, 0x6a5dcb37
	s_mov_b32 s11, 0x3e5ade15
	v_fma_f64 v[24:25], v[20:21], s[10:11], v[24:25]
	s_mov_b32 s10, 0x537c9ebc
	s_mov_b32 s11, 0xbfab1bbc
	v_fma_f64 v[10:11], v[8:9], v[16:17], -v[10:11]
	v_fma_f64 v[24:25], v[20:21], v[24:25], s[14:15]
	s_mov_b32 s14, 0x14761f6e
	s_mov_b32 s15, 0x3f2a01a0
	v_add_f64 v[10:11], v[10:11], s[10:11]
	s_mov_b32 s10, 0x7c89e6b0
	s_mov_b32 s11, 0x3efa0199
	v_fma_f64 v[24:25], v[20:21], v[24:25], s[10:11]
	s_mov_b32 s10, 0xd536f53c
	s_mov_b32 s11, 0x3fba46da
	v_fma_f64 v[16:17], v[8:9], v[10:11], -v[16:17]
	v_fma_f64 v[24:25], v[20:21], v[24:25], s[14:15]
	s_mov_b32 s14, 0x11122322
	s_mov_b32 s15, 0x3f811111
	v_add_f64 v[16:17], v[16:17], s[10:11]
	s_mov_b32 s10, 0x1852b7b0
	s_mov_b32 s11, 0x3f56c16c
	v_fma_f64 v[24:25], v[20:21], v[24:25], s[10:11]
	s_mov_b32 s10, 0x469192e
	s_mov_b32 s11, 0xbfc694d1
	v_fma_f64 v[10:11], v[8:9], v[16:17], -v[10:11]
	v_fma_f64 v[24:25], v[20:21], v[24:25], s[14:15]
	s_mov_b32 s14, 0x55555511
	s_mov_b32 s15, 0x3fc55555
	v_add_f64 v[10:11], v[10:11], s[10:11]
	s_mov_b32 s10, 0x555502a1
	s_mov_b32 s11, 0x3fa55555
	v_fma_f64 v[8:9], v[8:9], v[10:11], -v[16:17]
	v_fma_f64 v[10:11], v[20:21], v[24:25], s[10:11]
	s_mov_b32 s10, 0x724a7ffa
	s_mov_b32 s11, 0x3fd02a63
	v_add_f64 v[8:9], v[8:9], s[10:11]
	v_fma_f64 v[10:11], v[20:21], v[10:11], s[14:15]
	s_mov_b32 s10, 11
	s_mov_b32 s11, 0x3fe00000
	v_add_f64 v[8:9], v[8:9], -v[16:17]
	v_fma_f64 v[10:11], v[20:21], v[10:11], s[10:11]
	v_mul_f64 v[8:9], v[8:9], 0.5
	v_fma_f64 v[10:11], v[20:21], v[10:11], 1.0
	v_mul_f64 v[8:9], |v[6:7]|, v[8:9]
	v_fma_f64 v[16:17], v[20:21], v[10:11], 1.0
	s_and_saveexec_b64 s[10:11], vcc
	s_xor_b64 s[10:11], exec, s[10:11]
                                        ; implicit-def: $vgpr10_vgpr11
	s_cbranch_execz .LBB0_59
; %bb.58:
	s_mov_b32 s14, 0
	s_mov_b32 s15, 0x40900000
	v_ldexp_f64 v[10:11], v[16:17], v18
	v_cmp_ngt_f64_e64 vcc, |v[6:7]|, s[14:15]
	v_mov_b32_e32 v16, 0x7ff00000
                                        ; implicit-def: $vgpr18
	v_cndmask_b32_e32 v7, v16, v11, vcc
	v_cndmask_b32_e32 v6, 0, v10, vcc
	v_mul_f64 v[10:11], v[6:7], v[8:9]
                                        ; implicit-def: $vgpr16_vgpr17
                                        ; implicit-def: $vgpr6_vgpr7
                                        ; implicit-def: $vgpr8_vgpr9
.LBB0_59:
	s_andn2_saveexec_b64 s[10:11], s[10:11]
	s_cbranch_execz .LBB0_61
; %bb.60:
	s_mov_b32 s14, 0
	s_mov_b32 s15, 0x40900000
	v_ldexp_f64 v[10:11], -v[16:17], v18
	v_cmp_ngt_f64_e64 vcc, |v[6:7]|, s[14:15]
	v_mov_b32_e32 v16, 0xfff00000
	v_cndmask_b32_e32 v7, v16, v11, vcc
	v_cndmask_b32_e32 v6, 0, v10, vcc
	v_mul_f64 v[10:11], v[6:7], v[8:9]
.LBB0_61:
	s_or_b64 exec, exec, s[10:11]
                                        ; implicit-def: $vgpr6_vgpr7
.LBB0_62:
	s_andn2_saveexec_b64 s[10:11], s[6:7]
	s_cbranch_execz .LBB0_68
; %bb.63:
	s_mov_b32 s6, 0
	v_and_b32_e32 v9, 0x7fffffff, v7
	v_mov_b32_e32 v8, v6
	s_mov_b32 s7, 0x40400000
	v_div_scale_f64 v[10:11], s[14:15], v[8:9], v[8:9], s[6:7]
	v_div_scale_f64 v[8:9], vcc, s[6:7], v[8:9], s[6:7]
	v_mov_b32_e32 v24, 0xfca7ab0c
	v_mov_b32_e32 v25, 0x3e928af3
	v_rcp_f64_e32 v[16:17], v[10:11]
	v_fma_f64 v[18:19], -v[10:11], v[16:17], 1.0
	v_fma_f64 v[16:17], v[16:17], v[18:19], v[16:17]
	v_fma_f64 v[18:19], -v[10:11], v[16:17], 1.0
	v_fma_f64 v[16:17], v[16:17], v[18:19], v[16:17]
	v_mul_f64 v[18:19], v[8:9], v[16:17]
	v_fma_f64 v[8:9], -v[10:11], v[18:19], v[8:9]
	v_mov_b32_e32 v10, 0xea87b950
	v_mov_b32_e32 v11, 0x3c545b8a
	v_div_fmas_f64 v[8:9], v[8:9], v[16:17], v[18:19]
	v_cmp_ngt_f64_e32 vcc, 0, v[6:7]
	v_div_fixup_f64 v[8:9], v[8:9], |v[6:7]|, s[6:7]
	s_mov_b32 s7, 0x3c61556d
	s_mov_b32 s6, 0xb352e8e6
	v_add_f64 v[8:9], v[8:9], -2.0
	v_fma_f64 v[10:11], v[8:9], s[6:7], v[10:11]
	s_mov_b32 s7, 0xbc61556d
	v_fma_f64 v[16:17], v[8:9], v[10:11], s[6:7]
	s_mov_b32 s6, 0xb2532277
	s_mov_b32 s7, 0xbc8acea3
	v_add_f64 v[16:17], v[16:17], s[6:7]
	s_mov_b32 s6, 0x9c773320
	s_mov_b32 s7, 0xbc82806c
	v_fma_f64 v[10:11], v[8:9], v[16:17], -v[10:11]
	v_add_f64 v[10:11], v[10:11], s[6:7]
	s_mov_b32 s6, 0xfceb588a
	s_mov_b32 s7, 0x3cb55915
	v_fma_f64 v[16:17], v[8:9], v[10:11], -v[16:17]
	;; [unrolled: 4-line block ×14, first 2 shown]
	v_add_f64 v[16:17], v[16:17], s[6:7]
	s_mov_b32 s6, 0x652b82fe
	s_mov_b32 s7, 0x3ff71547
	v_mul_f64 v[18:19], |v[6:7]|, s[6:7]
	s_mov_b32 s6, 0x5423dd80
	s_mov_b32 s7, 0xbe0334ca
	v_fma_f64 v[10:11], v[8:9], v[16:17], -v[10:11]
	v_rndne_f64_e32 v[18:19], v[18:19]
	v_add_f64 v[10:11], v[10:11], s[6:7]
	s_mov_b32 s6, 0xfefa39ef
	s_mov_b32 s7, 0xbfe62e42
	v_fma_f64 v[20:21], v[18:19], s[6:7], |v[6:7]|
	s_mov_b32 s6, 0x9ad53528
	s_mov_b32 s7, 0xbe30790b
	v_fma_f64 v[16:17], v[8:9], v[10:11], -v[16:17]
	v_add_f64 v[16:17], v[16:17], s[6:7]
	s_mov_b32 s6, 0x3b39803f
	s_mov_b32 s7, 0xbc7abc9e
	v_fma_f64 v[20:21], v[18:19], s[6:7], v[20:21]
	s_mov_b32 s6, 0x6a5dcb37
	s_mov_b32 s7, 0x3e5ade15
	v_cvt_i32_f64_e32 v18, v[18:19]
	v_fma_f64 v[10:11], v[8:9], v[16:17], -v[10:11]
	v_fma_f64 v[24:25], v[20:21], s[6:7], v[24:25]
	s_mov_b32 s6, 0x94bb46c1
	s_mov_b32 s7, 0xbe5c4153
	v_add_f64 v[10:11], v[10:11], s[6:7]
	s_mov_b32 s6, 0x623fde64
	s_mov_b32 s7, 0x3ec71dee
	v_fma_f64 v[24:25], v[20:21], v[24:25], s[6:7]
	s_mov_b32 s6, 0x7c89e6b0
	s_mov_b32 s7, 0x3efa0199
	v_fma_f64 v[16:17], v[8:9], v[10:11], -v[16:17]
	v_fma_f64 v[24:25], v[20:21], v[24:25], s[6:7]
	s_mov_b32 s6, 0x2e9e5443
	s_mov_b32 s7, 0xbe90dbfd
	v_add_f64 v[16:17], v[16:17], s[6:7]
	s_mov_b32 s6, 0x14761f6e
	s_mov_b32 s7, 0x3f2a01a0
	v_fma_f64 v[24:25], v[20:21], v[24:25], s[6:7]
	s_mov_b32 s6, 0x1852b7b0
	s_mov_b32 s7, 0x3f56c16c
	;; [unrolled: 10-line block ×4, first 2 shown]
	v_fma_f64 v[10:11], v[8:9], v[16:17], -v[10:11]
	v_fma_f64 v[24:25], v[20:21], v[24:25], s[6:7]
	s_mov_b32 s6, 0x53fcdb4c
	s_mov_b32 s7, 0xbf83fda0
	v_add_f64 v[10:11], v[10:11], s[6:7]
	s_mov_b32 s6, 0xb55b1514
	s_mov_b32 s7, 0x3fe8ea18
	v_fma_f64 v[24:25], v[20:21], v[24:25], 1.0
	v_fma_f64 v[8:9], v[8:9], v[10:11], -v[16:17]
	v_fma_f64 v[10:11], v[20:21], v[24:25], 1.0
	v_add_f64 v[8:9], v[8:9], s[6:7]
	s_mov_b32 s6, 0
	s_mov_b32 s7, 0x40900000
	v_ldexp_f64 v[10:11], v[10:11], v18
	v_cmp_ngt_f64_e64 s[6:7], |v[6:7]|, s[6:7]
	v_mov_b32_e32 v18, 0x7ff00000
	v_add_f64 v[16:17], v[8:9], -v[16:17]
	v_cndmask_b32_e64 v9, v18, v11, s[6:7]
	v_cndmask_b32_e64 v8, 0, v10, s[6:7]
	s_and_saveexec_b64 s[6:7], vcc
	s_xor_b64 s[6:7], exec, s[6:7]
                                        ; implicit-def: $vgpr10_vgpr11
	s_cbranch_execz .LBB0_65
; %bb.64:
	s_mov_b32 s14, 0
	s_brev_b32 s15, 8
	v_cmp_lt_f64_e64 vcc, |v[6:7]|, s[14:15]
	v_mov_b32_e32 v10, 0x100
	v_mul_f64 v[16:17], v[16:17], 0.5
	v_cndmask_b32_e32 v10, 0, v10, vcc
	v_ldexp_f64 v[6:7], |v[6:7]|, v10
	v_mul_f64 v[8:9], v[8:9], v[16:17]
	v_rsq_f64_e32 v[10:11], v[6:7]
	v_mul_f64 v[18:19], v[6:7], v[10:11]
	v_mul_f64 v[10:11], v[10:11], 0.5
	v_fma_f64 v[20:21], -v[10:11], v[18:19], 0.5
	v_fma_f64 v[18:19], v[18:19], v[20:21], v[18:19]
	v_fma_f64 v[10:11], v[10:11], v[20:21], v[10:11]
	v_fma_f64 v[20:21], -v[18:19], v[18:19], v[6:7]
	v_fma_f64 v[18:19], v[20:21], v[10:11], v[18:19]
	v_fma_f64 v[20:21], -v[18:19], v[18:19], v[6:7]
	v_fma_f64 v[10:11], v[20:21], v[10:11], v[18:19]
	v_mov_b32_e32 v18, 0xffffff80
	v_mov_b32_e32 v19, 0x260
	v_cndmask_b32_e32 v18, 0, v18, vcc
	v_cmp_class_f64_e32 vcc, v[6:7], v19
	v_ldexp_f64 v[10:11], v[10:11], v18
	v_cndmask_b32_e32 v7, v11, v7, vcc
	v_cndmask_b32_e32 v6, v10, v6, vcc
	v_div_scale_f64 v[10:11], s[14:15], v[6:7], v[6:7], v[8:9]
	v_div_scale_f64 v[20:21], vcc, v[8:9], v[6:7], v[8:9]
	v_rcp_f64_e32 v[16:17], v[10:11]
	v_fma_f64 v[18:19], -v[10:11], v[16:17], 1.0
	v_fma_f64 v[16:17], v[16:17], v[18:19], v[16:17]
	v_fma_f64 v[18:19], -v[10:11], v[16:17], 1.0
	v_fma_f64 v[16:17], v[16:17], v[18:19], v[16:17]
	v_mul_f64 v[18:19], v[20:21], v[16:17]
	v_fma_f64 v[10:11], -v[10:11], v[18:19], v[20:21]
	v_div_fmas_f64 v[10:11], v[10:11], v[16:17], v[18:19]
                                        ; implicit-def: $vgpr16_vgpr17
	v_div_fixup_f64 v[10:11], v[10:11], v[6:7], v[8:9]
                                        ; implicit-def: $vgpr6_vgpr7
                                        ; implicit-def: $vgpr8_vgpr9
.LBB0_65:
	s_andn2_saveexec_b64 s[6:7], s[6:7]
	s_cbranch_execz .LBB0_67
; %bb.66:
	s_mov_b32 s14, 0
	s_brev_b32 s15, 8
	v_cmp_lt_f64_e64 vcc, |v[6:7]|, s[14:15]
	v_mov_b32_e32 v10, 0x100
	v_mul_f64 v[16:17], v[16:17], -0.5
	v_cndmask_b32_e32 v10, 0, v10, vcc
	v_ldexp_f64 v[6:7], |v[6:7]|, v10
	v_mul_f64 v[8:9], v[8:9], v[16:17]
	v_rsq_f64_e32 v[10:11], v[6:7]
	v_mul_f64 v[18:19], v[6:7], v[10:11]
	v_mul_f64 v[10:11], v[10:11], 0.5
	v_fma_f64 v[20:21], -v[10:11], v[18:19], 0.5
	v_fma_f64 v[18:19], v[18:19], v[20:21], v[18:19]
	v_fma_f64 v[10:11], v[10:11], v[20:21], v[10:11]
	v_fma_f64 v[20:21], -v[18:19], v[18:19], v[6:7]
	v_fma_f64 v[18:19], v[20:21], v[10:11], v[18:19]
	v_fma_f64 v[20:21], -v[18:19], v[18:19], v[6:7]
	v_fma_f64 v[10:11], v[20:21], v[10:11], v[18:19]
	v_mov_b32_e32 v18, 0xffffff80
	v_mov_b32_e32 v19, 0x260
	v_cndmask_b32_e32 v18, 0, v18, vcc
	v_cmp_class_f64_e32 vcc, v[6:7], v19
	v_ldexp_f64 v[10:11], v[10:11], v18
	v_cndmask_b32_e32 v7, v11, v7, vcc
	v_cndmask_b32_e32 v6, v10, v6, vcc
	v_div_scale_f64 v[10:11], s[14:15], v[6:7], v[6:7], v[8:9]
	v_div_scale_f64 v[20:21], vcc, v[8:9], v[6:7], v[8:9]
	v_rcp_f64_e32 v[16:17], v[10:11]
	v_fma_f64 v[18:19], -v[10:11], v[16:17], 1.0
	v_fma_f64 v[16:17], v[16:17], v[18:19], v[16:17]
	v_fma_f64 v[18:19], -v[10:11], v[16:17], 1.0
	v_fma_f64 v[16:17], v[16:17], v[18:19], v[16:17]
	v_mul_f64 v[18:19], v[20:21], v[16:17]
	v_fma_f64 v[10:11], -v[10:11], v[18:19], v[20:21]
	v_div_fmas_f64 v[10:11], v[10:11], v[16:17], v[18:19]
	v_div_fixup_f64 v[10:11], v[10:11], v[6:7], v[8:9]
.LBB0_67:
	s_or_b64 exec, exec, s[6:7]
.LBB0_68:
	s_or_b64 exec, exec, s[10:11]
	s_or_b64 exec, exec, s[8:9]
	s_and_saveexec_b64 s[6:7], s[4:5]
	s_xor_b64 s[4:5], exec, s[6:7]
	s_cbranch_execz .LBB0_52
.LBB0_69:
	v_mov_b32_e32 v6, 0
	v_lshlrev_b64 v[5:6], 3, v[5:6]
	v_mov_b32_e32 v22, v23
	v_add_co_u32_e32 v5, vcc, v0, v5
	v_addc_co_u32_e32 v6, vcc, v1, v6, vcc
	flat_store_dwordx2 v[5:6], v[2:3]
	s_or_b64 exec, exec, s[4:5]
	v_cmp_lt_i32_e32 vcc, v22, v4
	s_and_saveexec_b64 s[4:5], vcc
	s_cbranch_execz .LBB0_53
.LBB0_70:
	v_add_u32_e32 v2, s12, v22
	v_mov_b32_e32 v3, 0
	v_lshlrev_b64 v[2:3], 3, v[2:3]
	v_add_u32_e32 v22, 0x100, v22
	v_add_co_u32_e32 v2, vcc, v0, v2
	v_addc_co_u32_e32 v3, vcc, v1, v3, vcc
	flat_store_dwordx2 v[2:3], v[14:15]
	s_or_b64 exec, exec, s[4:5]
	v_cmp_lt_i32_e32 vcc, v22, v4
	s_and_saveexec_b64 s[4:5], vcc
	s_cbranch_execz .LBB0_54
.LBB0_71:
	v_add_u32_e32 v2, s12, v22
	v_mov_b32_e32 v3, 0
	v_lshlrev_b64 v[2:3], 3, v[2:3]
	v_add_u32_e32 v22, 0x100, v22
	v_add_co_u32_e32 v2, vcc, v0, v2
	v_addc_co_u32_e32 v3, vcc, v1, v3, vcc
	flat_store_dwordx2 v[2:3], v[12:13]
	s_or_b64 exec, exec, s[4:5]
	v_cmp_lt_i32_e32 vcc, v22, v4
	s_and_saveexec_b64 s[4:5], vcc
	s_cbranch_execz .LBB0_55
.LBB0_72:
	v_add_u32_e32 v2, s12, v22
	v_mov_b32_e32 v3, 0
	v_lshlrev_b64 v[2:3], 3, v[2:3]
	v_add_co_u32_e32 v0, vcc, v0, v2
	v_addc_co_u32_e32 v1, vcc, v1, v3, vcc
	flat_store_dwordx2 v[0:1], v[10:11]
	s_or_b64 exec, exec, s[4:5]
	s_waitcnt vmcnt(0) lgkmcnt(0)
	s_setpc_b64 s[30:31]
.Lfunc_end0:
	.size	_ZN2at6native25elementwise_kernel_helperILb0EZZZNS0_12_GLOBAL__N_130modified_bessel_i1_kernel_cudaERNS_18TensorIteratorBaseEENKUlvE_clEvENKUlvE_clEvEUldE_NS0_6memory8policies11unroll_baseILi256ESt5arrayIPcLm2EE23TrivialOffsetCalculatorILi1EjESF_NS8_15LoadWithoutCastENS8_16StoreWithoutCastELi4ELi1EEEEEvT0_T1_, .Lfunc_end0-_ZN2at6native25elementwise_kernel_helperILb0EZZZNS0_12_GLOBAL__N_130modified_bessel_i1_kernel_cudaERNS_18TensorIteratorBaseEENKUlvE_clEvENKUlvE_clEvEUldE_NS0_6memory8policies11unroll_baseILi256ESt5arrayIPcLm2EE23TrivialOffsetCalculatorILi1EjESF_NS8_15LoadWithoutCastENS8_16StoreWithoutCastELi4ELi1EEEEEvT0_T1_
                                        ; -- End function
	.set .L_ZN2at6native25elementwise_kernel_helperILb0EZZZNS0_12_GLOBAL__N_130modified_bessel_i1_kernel_cudaERNS_18TensorIteratorBaseEENKUlvE_clEvENKUlvE_clEvEUldE_NS0_6memory8policies11unroll_baseILi256ESt5arrayIPcLm2EE23TrivialOffsetCalculatorILi1EjESF_NS8_15LoadWithoutCastENS8_16StoreWithoutCastELi4ELi1EEEEEvT0_T1_.num_vgpr, 32
	.set .L_ZN2at6native25elementwise_kernel_helperILb0EZZZNS0_12_GLOBAL__N_130modified_bessel_i1_kernel_cudaERNS_18TensorIteratorBaseEENKUlvE_clEvENKUlvE_clEvEUldE_NS0_6memory8policies11unroll_baseILi256ESt5arrayIPcLm2EE23TrivialOffsetCalculatorILi1EjESF_NS8_15LoadWithoutCastENS8_16StoreWithoutCastELi4ELi1EEEEEvT0_T1_.num_agpr, 0
	.set .L_ZN2at6native25elementwise_kernel_helperILb0EZZZNS0_12_GLOBAL__N_130modified_bessel_i1_kernel_cudaERNS_18TensorIteratorBaseEENKUlvE_clEvENKUlvE_clEvEUldE_NS0_6memory8policies11unroll_baseILi256ESt5arrayIPcLm2EE23TrivialOffsetCalculatorILi1EjESF_NS8_15LoadWithoutCastENS8_16StoreWithoutCastELi4ELi1EEEEEvT0_T1_.numbered_sgpr, 32
	.set .L_ZN2at6native25elementwise_kernel_helperILb0EZZZNS0_12_GLOBAL__N_130modified_bessel_i1_kernel_cudaERNS_18TensorIteratorBaseEENKUlvE_clEvENKUlvE_clEvEUldE_NS0_6memory8policies11unroll_baseILi256ESt5arrayIPcLm2EE23TrivialOffsetCalculatorILi1EjESF_NS8_15LoadWithoutCastENS8_16StoreWithoutCastELi4ELi1EEEEEvT0_T1_.num_named_barrier, 0
	.set .L_ZN2at6native25elementwise_kernel_helperILb0EZZZNS0_12_GLOBAL__N_130modified_bessel_i1_kernel_cudaERNS_18TensorIteratorBaseEENKUlvE_clEvENKUlvE_clEvEUldE_NS0_6memory8policies11unroll_baseILi256ESt5arrayIPcLm2EE23TrivialOffsetCalculatorILi1EjESF_NS8_15LoadWithoutCastENS8_16StoreWithoutCastELi4ELi1EEEEEvT0_T1_.private_seg_size, 0
	.set .L_ZN2at6native25elementwise_kernel_helperILb0EZZZNS0_12_GLOBAL__N_130modified_bessel_i1_kernel_cudaERNS_18TensorIteratorBaseEENKUlvE_clEvENKUlvE_clEvEUldE_NS0_6memory8policies11unroll_baseILi256ESt5arrayIPcLm2EE23TrivialOffsetCalculatorILi1EjESF_NS8_15LoadWithoutCastENS8_16StoreWithoutCastELi4ELi1EEEEEvT0_T1_.uses_vcc, 1
	.set .L_ZN2at6native25elementwise_kernel_helperILb0EZZZNS0_12_GLOBAL__N_130modified_bessel_i1_kernel_cudaERNS_18TensorIteratorBaseEENKUlvE_clEvENKUlvE_clEvEUldE_NS0_6memory8policies11unroll_baseILi256ESt5arrayIPcLm2EE23TrivialOffsetCalculatorILi1EjESF_NS8_15LoadWithoutCastENS8_16StoreWithoutCastELi4ELi1EEEEEvT0_T1_.uses_flat_scratch, 0
	.set .L_ZN2at6native25elementwise_kernel_helperILb0EZZZNS0_12_GLOBAL__N_130modified_bessel_i1_kernel_cudaERNS_18TensorIteratorBaseEENKUlvE_clEvENKUlvE_clEvEUldE_NS0_6memory8policies11unroll_baseILi256ESt5arrayIPcLm2EE23TrivialOffsetCalculatorILi1EjESF_NS8_15LoadWithoutCastENS8_16StoreWithoutCastELi4ELi1EEEEEvT0_T1_.has_dyn_sized_stack, 0
	.set .L_ZN2at6native25elementwise_kernel_helperILb0EZZZNS0_12_GLOBAL__N_130modified_bessel_i1_kernel_cudaERNS_18TensorIteratorBaseEENKUlvE_clEvENKUlvE_clEvEUldE_NS0_6memory8policies11unroll_baseILi256ESt5arrayIPcLm2EE23TrivialOffsetCalculatorILi1EjESF_NS8_15LoadWithoutCastENS8_16StoreWithoutCastELi4ELi1EEEEEvT0_T1_.has_recursion, 0
	.set .L_ZN2at6native25elementwise_kernel_helperILb0EZZZNS0_12_GLOBAL__N_130modified_bessel_i1_kernel_cudaERNS_18TensorIteratorBaseEENKUlvE_clEvENKUlvE_clEvEUldE_NS0_6memory8policies11unroll_baseILi256ESt5arrayIPcLm2EE23TrivialOffsetCalculatorILi1EjESF_NS8_15LoadWithoutCastENS8_16StoreWithoutCastELi4ELi1EEEEEvT0_T1_.has_indirect_call, 0
	.section	.AMDGPU.csdata,"",@progbits
; Function info:
; codeLenInByte = 13756
; TotalNumSgprs: 36
; NumVgprs: 32
; ScratchSize: 0
; MemoryBound: 0
	.text
	.p2align	2                               ; -- Begin function _ZN2at6native25elementwise_kernel_helperILb0EZZZNS0_12_GLOBAL__N_130modified_bessel_i1_kernel_cudaERNS_18TensorIteratorBaseEENKUlvE_clEvENKUlvE_clEvEUldE_NS0_6memory8policies10vectorizedILi4ESt5arrayIPcLm2EELi4EEEEEvT0_T1_
	.type	_ZN2at6native25elementwise_kernel_helperILb0EZZZNS0_12_GLOBAL__N_130modified_bessel_i1_kernel_cudaERNS_18TensorIteratorBaseEENKUlvE_clEvENKUlvE_clEvEUldE_NS0_6memory8policies10vectorizedILi4ESt5arrayIPcLm2EELi4EEEEEvT0_T1_,@function
_ZN2at6native25elementwise_kernel_helperILb0EZZZNS0_12_GLOBAL__N_130modified_bessel_i1_kernel_cudaERNS_18TensorIteratorBaseEENKUlvE_clEvENKUlvE_clEvEUldE_NS0_6memory8policies10vectorizedILi4ESt5arrayIPcLm2EELi4EEEEEvT0_T1_: ; @_ZN2at6native25elementwise_kernel_helperILb0EZZZNS0_12_GLOBAL__N_130modified_bessel_i1_kernel_cudaERNS_18TensorIteratorBaseEENKUlvE_clEvENKUlvE_clEvEUldE_NS0_6memory8policies10vectorizedILi4ESt5arrayIPcLm2EELi4EEEEEvT0_T1_
; %bb.0:
	s_waitcnt vmcnt(0) expcnt(0) lgkmcnt(0)
	s_lshl_b32 s4, s12, 10
	s_ashr_i32 s5, s4, 31
	s_lshl_b64 s[6:7], s[4:5], 3
	v_mov_b32_e32 v4, s7
	v_add_co_u32_e32 v2, vcc, s6, v2
	v_addc_co_u32_e32 v3, vcc, v3, v4, vcc
	v_and_b32_e32 v4, 0x3ff, v31
	v_lshlrev_b32_e32 v16, 5, v4
	v_add_co_u32_e32 v6, vcc, v2, v16
	v_addc_co_u32_e32 v7, vcc, 0, v3, vcc
	flat_load_dwordx4 v[8:11], v[6:7]
	flat_load_dwordx4 v[2:5], v[6:7] offset:16
	s_mov_b32 s4, 0
	s_mov_b32 s5, 0x40200000
                                        ; implicit-def: $vgpr6_vgpr7
	s_waitcnt vmcnt(0) lgkmcnt(0)
	v_cmp_le_f64_e64 s[4:5], |v[8:9]|, s[4:5]
	s_and_saveexec_b64 s[8:9], s[4:5]
	s_xor_b64 s[4:5], exec, s[8:9]
	s_cbranch_execz .LBB1_6
; %bb.1:
	v_fma_f64 v[6:7], |v[8:9]|, 0.5, -2.0
	v_mov_b32_e32 v12, 0xc38a0576
	v_mov_b32_e32 v13, 0xbc7857d0
	s_mov_b32 s9, 0x3c499f2a
	s_mov_b32 s8, 0xc3c4014
	v_mov_b32_e32 v17, 0xfca7ab0c
	v_mov_b32_e32 v18, 0x3e928af3
	v_cmp_ngt_f64_e32 vcc, 0, v[8:9]
	v_fma_f64 v[12:13], v[6:7], s[8:9], v[12:13]
	s_mov_b32 s9, 0xbc499f2a
	v_fma_f64 v[14:15], v[6:7], v[12:13], s[8:9]
	s_mov_b32 s8, 0xe593bfac
	s_mov_b32 s9, 0x3ca663e3
	v_add_f64 v[14:15], v[14:15], s[8:9]
	s_mov_b32 s8, 0x7e0d1573
	s_mov_b32 s9, 0xbcd3eaaa
	v_fma_f64 v[12:13], v[6:7], v[14:15], -v[12:13]
	v_add_f64 v[12:13], v[12:13], s[8:9]
	s_mov_b32 s8, 0x615290c
	s_mov_b32 s9, 0x3d011d7f
	v_fma_f64 v[14:15], v[6:7], v[12:13], -v[14:15]
	;; [unrolled: 4-line block ×26, first 2 shown]
	v_add_f64 v[6:7], v[6:7], s[8:9]
	s_mov_b32 s8, 0x652b82fe
	s_mov_b32 s9, 0x3ff71547
	v_add_f64 v[6:7], v[6:7], -v[14:15]
	v_mul_f64 v[6:7], v[6:7], 0.5
	v_mul_f64 v[12:13], |v[8:9]|, v[6:7]
	v_mul_f64 v[6:7], |v[8:9]|, s[8:9]
	s_mov_b32 s8, 0xfefa39ef
	s_mov_b32 s9, 0xbfe62e42
	v_rndne_f64_e32 v[6:7], v[6:7]
	v_fma_f64 v[14:15], v[6:7], s[8:9], |v[8:9]|
	s_mov_b32 s8, 0x3b39803f
	s_mov_b32 s9, 0xbc7abc9e
	v_fma_f64 v[14:15], v[6:7], s[8:9], v[14:15]
	s_mov_b32 s8, 0x6a5dcb37
	s_mov_b32 s9, 0x3e5ade15
	v_fma_f64 v[17:18], v[14:15], s[8:9], v[17:18]
	;; [unrolled: 3-line block ×10, first 2 shown]
	v_fma_f64 v[17:18], v[14:15], v[17:18], 1.0
	v_fma_f64 v[14:15], v[14:15], v[17:18], 1.0
	v_cvt_i32_f64_e32 v17, v[6:7]
                                        ; implicit-def: $vgpr6_vgpr7
	s_and_saveexec_b64 s[8:9], vcc
	s_xor_b64 s[8:9], exec, s[8:9]
	s_cbranch_execz .LBB1_3
; %bb.2:
	s_mov_b32 s10, 0
	s_mov_b32 s11, 0x40900000
	v_ldexp_f64 v[6:7], v[14:15], v17
	v_cmp_ngt_f64_e64 vcc, |v[8:9]|, s[10:11]
	v_mov_b32_e32 v14, 0x7ff00000
                                        ; implicit-def: $vgpr17
	v_cndmask_b32_e32 v7, v14, v7, vcc
	v_cndmask_b32_e32 v6, 0, v6, vcc
	v_mul_f64 v[6:7], v[6:7], v[12:13]
                                        ; implicit-def: $vgpr14_vgpr15
                                        ; implicit-def: $vgpr12_vgpr13
.LBB1_3:
	s_andn2_saveexec_b64 s[8:9], s[8:9]
	s_cbranch_execz .LBB1_5
; %bb.4:
	s_mov_b32 s10, 0
	s_mov_b32 s11, 0x40900000
	v_ldexp_f64 v[6:7], -v[14:15], v17
	v_cmp_ngt_f64_e64 vcc, |v[8:9]|, s[10:11]
	v_mov_b32_e32 v14, 0xfff00000
	v_cndmask_b32_e32 v7, v14, v7, vcc
	v_cndmask_b32_e32 v6, 0, v6, vcc
	v_mul_f64 v[6:7], v[6:7], v[12:13]
.LBB1_5:
	s_or_b64 exec, exec, s[8:9]
.LBB1_6:
	s_andn2_saveexec_b64 s[8:9], s[4:5]
	s_cbranch_execz .LBB1_12
; %bb.7:
	s_mov_b32 s4, 0
	v_and_b32_e32 v7, 0x7fffffff, v9
	v_mov_b32_e32 v6, v8
	s_mov_b32 s5, 0x40400000
	v_div_scale_f64 v[12:13], s[10:11], v[6:7], v[6:7], s[4:5]
	v_div_scale_f64 v[6:7], vcc, s[4:5], v[6:7], s[4:5]
	v_mov_b32_e32 v19, 0xfca7ab0c
	v_mov_b32_e32 v20, 0x3e928af3
	v_rcp_f64_e32 v[14:15], v[12:13]
	v_fma_f64 v[17:18], -v[12:13], v[14:15], 1.0
	v_fma_f64 v[14:15], v[14:15], v[17:18], v[14:15]
	v_fma_f64 v[17:18], -v[12:13], v[14:15], 1.0
	v_fma_f64 v[14:15], v[14:15], v[17:18], v[14:15]
	v_mul_f64 v[17:18], v[6:7], v[14:15]
	v_fma_f64 v[6:7], -v[12:13], v[17:18], v[6:7]
	v_mov_b32_e32 v12, 0xea87b950
	v_mov_b32_e32 v13, 0x3c545b8a
	v_div_fmas_f64 v[6:7], v[6:7], v[14:15], v[17:18]
	v_cmp_ngt_f64_e32 vcc, 0, v[8:9]
	v_div_fixup_f64 v[6:7], v[6:7], |v[8:9]|, s[4:5]
	s_mov_b32 s5, 0x3c61556d
	s_mov_b32 s4, 0xb352e8e6
	v_add_f64 v[6:7], v[6:7], -2.0
	v_fma_f64 v[12:13], v[6:7], s[4:5], v[12:13]
	s_mov_b32 s5, 0xbc61556d
	v_fma_f64 v[14:15], v[6:7], v[12:13], s[4:5]
	s_mov_b32 s4, 0xb2532277
	s_mov_b32 s5, 0xbc8acea3
	v_add_f64 v[14:15], v[14:15], s[4:5]
	s_mov_b32 s4, 0x9c773320
	s_mov_b32 s5, 0xbc82806c
	v_fma_f64 v[12:13], v[6:7], v[14:15], -v[12:13]
	v_add_f64 v[12:13], v[12:13], s[4:5]
	s_mov_b32 s4, 0xfceb588a
	s_mov_b32 s5, 0x3cb55915
	v_fma_f64 v[14:15], v[6:7], v[12:13], -v[14:15]
	;; [unrolled: 4-line block ×22, first 2 shown]
	v_add_f64 v[6:7], v[6:7], s[4:5]
	s_mov_b32 s4, 0x652b82fe
	s_mov_b32 s5, 0x3ff71547
	v_mul_f64 v[12:13], |v[8:9]|, s[4:5]
	s_mov_b32 s4, 0xfefa39ef
	s_mov_b32 s5, 0xbfe62e42
	v_add_f64 v[14:15], v[6:7], -v[14:15]
                                        ; implicit-def: $vgpr6_vgpr7
	v_rndne_f64_e32 v[12:13], v[12:13]
	v_fma_f64 v[17:18], v[12:13], s[4:5], |v[8:9]|
	s_mov_b32 s4, 0x3b39803f
	s_mov_b32 s5, 0xbc7abc9e
	v_fma_f64 v[17:18], v[12:13], s[4:5], v[17:18]
	s_mov_b32 s4, 0x6a5dcb37
	s_mov_b32 s5, 0x3e5ade15
	v_cvt_i32_f64_e32 v12, v[12:13]
	v_fma_f64 v[19:20], v[17:18], s[4:5], v[19:20]
	s_mov_b32 s4, 0x623fde64
	s_mov_b32 s5, 0x3ec71dee
	v_fma_f64 v[19:20], v[17:18], v[19:20], s[4:5]
	s_mov_b32 s4, 0x7c89e6b0
	s_mov_b32 s5, 0x3efa0199
	;; [unrolled: 3-line block ×9, first 2 shown]
	v_cmp_ngt_f64_e64 s[4:5], |v[8:9]|, s[4:5]
	v_fma_f64 v[19:20], v[17:18], v[19:20], 1.0
	v_fma_f64 v[17:18], v[17:18], v[19:20], 1.0
	v_ldexp_f64 v[12:13], v[17:18], v12
	v_mov_b32_e32 v17, 0x7ff00000
	v_cndmask_b32_e64 v13, v17, v13, s[4:5]
	v_cndmask_b32_e64 v12, 0, v12, s[4:5]
	s_and_saveexec_b64 s[4:5], vcc
	s_xor_b64 s[4:5], exec, s[4:5]
	s_cbranch_execz .LBB1_9
; %bb.8:
	s_mov_b32 s10, 0
	s_brev_b32 s11, 8
	v_cmp_lt_f64_e64 vcc, |v[8:9]|, s[10:11]
	v_mov_b32_e32 v6, 0x100
	v_mul_f64 v[14:15], v[14:15], 0.5
	v_cndmask_b32_e32 v6, 0, v6, vcc
	v_ldexp_f64 v[6:7], |v[8:9]|, v6
	v_mul_f64 v[12:13], v[12:13], v[14:15]
	v_rsq_f64_e32 v[17:18], v[6:7]
	v_mul_f64 v[19:20], v[6:7], v[17:18]
	v_mul_f64 v[17:18], v[17:18], 0.5
	v_fma_f64 v[21:22], -v[17:18], v[19:20], 0.5
	v_fma_f64 v[19:20], v[19:20], v[21:22], v[19:20]
	v_fma_f64 v[17:18], v[17:18], v[21:22], v[17:18]
	v_fma_f64 v[21:22], -v[19:20], v[19:20], v[6:7]
	v_fma_f64 v[19:20], v[21:22], v[17:18], v[19:20]
	v_fma_f64 v[21:22], -v[19:20], v[19:20], v[6:7]
	v_fma_f64 v[17:18], v[21:22], v[17:18], v[19:20]
	v_mov_b32_e32 v19, 0xffffff80
	v_mov_b32_e32 v20, 0x260
	v_cndmask_b32_e32 v19, 0, v19, vcc
	v_cmp_class_f64_e32 vcc, v[6:7], v20
	v_ldexp_f64 v[17:18], v[17:18], v19
	v_cndmask_b32_e32 v7, v18, v7, vcc
	v_cndmask_b32_e32 v6, v17, v6, vcc
	v_div_scale_f64 v[14:15], s[10:11], v[6:7], v[6:7], v[12:13]
	v_div_scale_f64 v[21:22], vcc, v[12:13], v[6:7], v[12:13]
	v_rcp_f64_e32 v[17:18], v[14:15]
	v_fma_f64 v[19:20], -v[14:15], v[17:18], 1.0
	v_fma_f64 v[17:18], v[17:18], v[19:20], v[17:18]
	v_fma_f64 v[19:20], -v[14:15], v[17:18], 1.0
	v_fma_f64 v[17:18], v[17:18], v[19:20], v[17:18]
	v_mul_f64 v[19:20], v[21:22], v[17:18]
	v_fma_f64 v[14:15], -v[14:15], v[19:20], v[21:22]
	v_div_fmas_f64 v[14:15], v[14:15], v[17:18], v[19:20]
	v_div_fixup_f64 v[6:7], v[14:15], v[6:7], v[12:13]
                                        ; implicit-def: $vgpr14_vgpr15
                                        ; implicit-def: $vgpr12_vgpr13
.LBB1_9:
	s_andn2_saveexec_b64 s[4:5], s[4:5]
	s_cbranch_execz .LBB1_11
; %bb.10:
	s_mov_b32 s10, 0
	s_brev_b32 s11, 8
	v_cmp_lt_f64_e64 vcc, |v[8:9]|, s[10:11]
	v_mov_b32_e32 v6, 0x100
	v_mul_f64 v[14:15], v[14:15], -0.5
	v_cndmask_b32_e32 v6, 0, v6, vcc
	v_ldexp_f64 v[6:7], |v[8:9]|, v6
	v_mul_f64 v[12:13], v[12:13], v[14:15]
	v_rsq_f64_e32 v[8:9], v[6:7]
	v_mul_f64 v[17:18], v[6:7], v[8:9]
	v_mul_f64 v[8:9], v[8:9], 0.5
	v_fma_f64 v[19:20], -v[8:9], v[17:18], 0.5
	v_fma_f64 v[17:18], v[17:18], v[19:20], v[17:18]
	v_fma_f64 v[8:9], v[8:9], v[19:20], v[8:9]
	v_fma_f64 v[19:20], -v[17:18], v[17:18], v[6:7]
	v_fma_f64 v[17:18], v[19:20], v[8:9], v[17:18]
	v_fma_f64 v[19:20], -v[17:18], v[17:18], v[6:7]
	v_fma_f64 v[8:9], v[19:20], v[8:9], v[17:18]
	v_mov_b32_e32 v17, 0xffffff80
	v_mov_b32_e32 v18, 0x260
	v_cndmask_b32_e32 v17, 0, v17, vcc
	v_cmp_class_f64_e32 vcc, v[6:7], v18
	v_ldexp_f64 v[8:9], v[8:9], v17
	v_cndmask_b32_e32 v7, v9, v7, vcc
	v_cndmask_b32_e32 v6, v8, v6, vcc
	v_div_scale_f64 v[8:9], s[10:11], v[6:7], v[6:7], v[12:13]
	v_div_scale_f64 v[19:20], vcc, v[12:13], v[6:7], v[12:13]
	v_rcp_f64_e32 v[14:15], v[8:9]
	v_fma_f64 v[17:18], -v[8:9], v[14:15], 1.0
	v_fma_f64 v[14:15], v[14:15], v[17:18], v[14:15]
	v_fma_f64 v[17:18], -v[8:9], v[14:15], 1.0
	v_fma_f64 v[14:15], v[14:15], v[17:18], v[14:15]
	v_mul_f64 v[17:18], v[19:20], v[14:15]
	v_fma_f64 v[8:9], -v[8:9], v[17:18], v[19:20]
	v_div_fmas_f64 v[8:9], v[8:9], v[14:15], v[17:18]
	v_div_fixup_f64 v[6:7], v[8:9], v[6:7], v[12:13]
.LBB1_11:
	s_or_b64 exec, exec, s[4:5]
.LBB1_12:
	s_or_b64 exec, exec, s[8:9]
	s_mov_b32 s4, 0
	s_mov_b32 s5, 0x40200000
	v_cmp_le_f64_e64 s[4:5], |v[10:11]|, s[4:5]
	s_and_saveexec_b64 s[8:9], s[4:5]
	s_xor_b64 s[4:5], exec, s[8:9]
	s_cbranch_execz .LBB1_18
; %bb.13:
	v_fma_f64 v[8:9], |v[10:11]|, 0.5, -2.0
	v_mov_b32_e32 v12, 0xc38a0576
	v_mov_b32_e32 v13, 0xbc7857d0
	s_mov_b32 s9, 0x3c499f2a
	s_mov_b32 s8, 0xc3c4014
	v_mov_b32_e32 v17, 0xfca7ab0c
	v_mov_b32_e32 v18, 0x3e928af3
	v_cmp_ngt_f64_e32 vcc, 0, v[10:11]
	v_fma_f64 v[12:13], v[8:9], s[8:9], v[12:13]
	s_mov_b32 s9, 0xbc499f2a
	v_fma_f64 v[14:15], v[8:9], v[12:13], s[8:9]
	s_mov_b32 s8, 0xe593bfac
	s_mov_b32 s9, 0x3ca663e3
	v_add_f64 v[14:15], v[14:15], s[8:9]
	s_mov_b32 s8, 0x7e0d1573
	s_mov_b32 s9, 0xbcd3eaaa
	v_fma_f64 v[12:13], v[8:9], v[14:15], -v[12:13]
	v_add_f64 v[12:13], v[12:13], s[8:9]
	s_mov_b32 s8, 0x615290c
	s_mov_b32 s9, 0x3d011d7f
	v_fma_f64 v[14:15], v[8:9], v[12:13], -v[14:15]
	;; [unrolled: 4-line block ×26, first 2 shown]
	v_add_f64 v[8:9], v[8:9], s[8:9]
	s_mov_b32 s8, 0x652b82fe
	s_mov_b32 s9, 0x3ff71547
	v_add_f64 v[8:9], v[8:9], -v[14:15]
	v_mul_f64 v[8:9], v[8:9], 0.5
	v_mul_f64 v[12:13], |v[10:11]|, v[8:9]
	v_mul_f64 v[8:9], |v[10:11]|, s[8:9]
	s_mov_b32 s8, 0xfefa39ef
	s_mov_b32 s9, 0xbfe62e42
	v_rndne_f64_e32 v[8:9], v[8:9]
	v_fma_f64 v[14:15], v[8:9], s[8:9], |v[10:11]|
	s_mov_b32 s8, 0x3b39803f
	s_mov_b32 s9, 0xbc7abc9e
	v_fma_f64 v[14:15], v[8:9], s[8:9], v[14:15]
	s_mov_b32 s8, 0x6a5dcb37
	s_mov_b32 s9, 0x3e5ade15
	v_fma_f64 v[17:18], v[14:15], s[8:9], v[17:18]
	;; [unrolled: 3-line block ×10, first 2 shown]
	v_fma_f64 v[17:18], v[14:15], v[17:18], 1.0
	v_fma_f64 v[14:15], v[14:15], v[17:18], 1.0
	v_cvt_i32_f64_e32 v17, v[8:9]
	s_and_saveexec_b64 s[8:9], vcc
	s_xor_b64 s[8:9], exec, s[8:9]
	s_cbranch_execz .LBB1_15
; %bb.14:
	s_mov_b32 s10, 0
	s_mov_b32 s11, 0x40900000
	v_ldexp_f64 v[8:9], v[14:15], v17
	v_cmp_ngt_f64_e64 vcc, |v[10:11]|, s[10:11]
	v_mov_b32_e32 v14, 0x7ff00000
                                        ; implicit-def: $vgpr17
                                        ; implicit-def: $vgpr10_vgpr11
	v_cndmask_b32_e32 v9, v14, v9, vcc
	v_cndmask_b32_e32 v8, 0, v8, vcc
	v_mul_f64 v[8:9], v[8:9], v[12:13]
                                        ; implicit-def: $vgpr14_vgpr15
                                        ; implicit-def: $vgpr12_vgpr13
.LBB1_15:
	s_andn2_saveexec_b64 s[8:9], s[8:9]
	s_cbranch_execz .LBB1_17
; %bb.16:
	s_mov_b32 s10, 0
	s_mov_b32 s11, 0x40900000
	v_ldexp_f64 v[8:9], -v[14:15], v17
	v_cmp_ngt_f64_e64 vcc, |v[10:11]|, s[10:11]
	v_mov_b32_e32 v14, 0xfff00000
	v_cndmask_b32_e32 v9, v14, v9, vcc
	v_cndmask_b32_e32 v8, 0, v8, vcc
	v_mul_f64 v[8:9], v[8:9], v[12:13]
.LBB1_17:
	s_or_b64 exec, exec, s[8:9]
                                        ; implicit-def: $vgpr10_vgpr11
.LBB1_18:
	s_andn2_saveexec_b64 s[8:9], s[4:5]
	s_cbranch_execz .LBB1_24
; %bb.19:
	s_mov_b32 s4, 0
	v_and_b32_e32 v9, 0x7fffffff, v11
	v_mov_b32_e32 v8, v10
	s_mov_b32 s5, 0x40400000
	v_div_scale_f64 v[12:13], s[10:11], v[8:9], v[8:9], s[4:5]
	v_div_scale_f64 v[8:9], vcc, s[4:5], v[8:9], s[4:5]
	v_mov_b32_e32 v19, 0xfca7ab0c
	v_mov_b32_e32 v20, 0x3e928af3
	v_rcp_f64_e32 v[14:15], v[12:13]
	v_fma_f64 v[17:18], -v[12:13], v[14:15], 1.0
	v_fma_f64 v[14:15], v[14:15], v[17:18], v[14:15]
	v_fma_f64 v[17:18], -v[12:13], v[14:15], 1.0
	v_fma_f64 v[14:15], v[14:15], v[17:18], v[14:15]
	v_mul_f64 v[17:18], v[8:9], v[14:15]
	v_fma_f64 v[8:9], -v[12:13], v[17:18], v[8:9]
	v_mov_b32_e32 v12, 0xea87b950
	v_mov_b32_e32 v13, 0x3c545b8a
	v_div_fmas_f64 v[8:9], v[8:9], v[14:15], v[17:18]
	v_cmp_ngt_f64_e32 vcc, 0, v[10:11]
	v_div_fixup_f64 v[8:9], v[8:9], |v[10:11]|, s[4:5]
	s_mov_b32 s5, 0x3c61556d
	s_mov_b32 s4, 0xb352e8e6
	v_add_f64 v[8:9], v[8:9], -2.0
	v_fma_f64 v[12:13], v[8:9], s[4:5], v[12:13]
	s_mov_b32 s5, 0xbc61556d
	v_fma_f64 v[14:15], v[8:9], v[12:13], s[4:5]
	s_mov_b32 s4, 0xb2532277
	s_mov_b32 s5, 0xbc8acea3
	v_add_f64 v[14:15], v[14:15], s[4:5]
	s_mov_b32 s4, 0x9c773320
	s_mov_b32 s5, 0xbc82806c
	v_fma_f64 v[12:13], v[8:9], v[14:15], -v[12:13]
	v_add_f64 v[12:13], v[12:13], s[4:5]
	s_mov_b32 s4, 0xfceb588a
	s_mov_b32 s5, 0x3cb55915
	v_fma_f64 v[14:15], v[8:9], v[12:13], -v[14:15]
	;; [unrolled: 4-line block ×22, first 2 shown]
	v_add_f64 v[8:9], v[8:9], s[4:5]
	s_mov_b32 s4, 0x652b82fe
	s_mov_b32 s5, 0x3ff71547
	v_mul_f64 v[12:13], |v[10:11]|, s[4:5]
	s_mov_b32 s4, 0xfefa39ef
	s_mov_b32 s5, 0xbfe62e42
	v_add_f64 v[14:15], v[8:9], -v[14:15]
	v_rndne_f64_e32 v[12:13], v[12:13]
	v_fma_f64 v[17:18], v[12:13], s[4:5], |v[10:11]|
	s_mov_b32 s4, 0x3b39803f
	s_mov_b32 s5, 0xbc7abc9e
	v_fma_f64 v[17:18], v[12:13], s[4:5], v[17:18]
	s_mov_b32 s4, 0x6a5dcb37
	s_mov_b32 s5, 0x3e5ade15
	v_cvt_i32_f64_e32 v12, v[12:13]
	v_fma_f64 v[19:20], v[17:18], s[4:5], v[19:20]
	s_mov_b32 s4, 0x623fde64
	s_mov_b32 s5, 0x3ec71dee
	v_fma_f64 v[19:20], v[17:18], v[19:20], s[4:5]
	s_mov_b32 s4, 0x7c89e6b0
	s_mov_b32 s5, 0x3efa0199
	;; [unrolled: 3-line block ×9, first 2 shown]
	v_cmp_ngt_f64_e64 s[4:5], |v[10:11]|, s[4:5]
	v_fma_f64 v[19:20], v[17:18], v[19:20], 1.0
	v_fma_f64 v[17:18], v[17:18], v[19:20], 1.0
	v_ldexp_f64 v[12:13], v[17:18], v12
	v_mov_b32_e32 v17, 0x7ff00000
	v_cndmask_b32_e64 v13, v17, v13, s[4:5]
	v_cndmask_b32_e64 v12, 0, v12, s[4:5]
	s_and_saveexec_b64 s[4:5], vcc
	s_xor_b64 s[4:5], exec, s[4:5]
	s_cbranch_execz .LBB1_21
; %bb.20:
	s_mov_b32 s10, 0
	s_brev_b32 s11, 8
	v_cmp_lt_f64_e64 vcc, |v[10:11]|, s[10:11]
	v_mov_b32_e32 v8, 0x100
	v_mul_f64 v[14:15], v[14:15], 0.5
	v_cndmask_b32_e32 v8, 0, v8, vcc
	v_ldexp_f64 v[8:9], |v[10:11]|, v8
	v_mul_f64 v[12:13], v[12:13], v[14:15]
	v_rsq_f64_e32 v[10:11], v[8:9]
	v_mul_f64 v[17:18], v[8:9], v[10:11]
	v_mul_f64 v[10:11], v[10:11], 0.5
	v_fma_f64 v[19:20], -v[10:11], v[17:18], 0.5
	v_fma_f64 v[17:18], v[17:18], v[19:20], v[17:18]
	v_fma_f64 v[10:11], v[10:11], v[19:20], v[10:11]
	v_fma_f64 v[19:20], -v[17:18], v[17:18], v[8:9]
	v_fma_f64 v[17:18], v[19:20], v[10:11], v[17:18]
	v_fma_f64 v[19:20], -v[17:18], v[17:18], v[8:9]
	v_fma_f64 v[10:11], v[19:20], v[10:11], v[17:18]
	v_mov_b32_e32 v17, 0xffffff80
	v_mov_b32_e32 v18, 0x260
	v_cndmask_b32_e32 v17, 0, v17, vcc
	v_cmp_class_f64_e32 vcc, v[8:9], v18
	v_ldexp_f64 v[10:11], v[10:11], v17
	v_cndmask_b32_e32 v9, v11, v9, vcc
	v_cndmask_b32_e32 v8, v10, v8, vcc
	v_div_scale_f64 v[10:11], s[10:11], v[8:9], v[8:9], v[12:13]
	v_div_scale_f64 v[19:20], vcc, v[12:13], v[8:9], v[12:13]
	v_rcp_f64_e32 v[14:15], v[10:11]
	v_fma_f64 v[17:18], -v[10:11], v[14:15], 1.0
	v_fma_f64 v[14:15], v[14:15], v[17:18], v[14:15]
	v_fma_f64 v[17:18], -v[10:11], v[14:15], 1.0
	v_fma_f64 v[14:15], v[14:15], v[17:18], v[14:15]
	v_mul_f64 v[17:18], v[19:20], v[14:15]
	v_fma_f64 v[10:11], -v[10:11], v[17:18], v[19:20]
	v_div_fmas_f64 v[10:11], v[10:11], v[14:15], v[17:18]
                                        ; implicit-def: $vgpr14_vgpr15
	v_div_fixup_f64 v[8:9], v[10:11], v[8:9], v[12:13]
                                        ; implicit-def: $vgpr10_vgpr11
                                        ; implicit-def: $vgpr12_vgpr13
.LBB1_21:
	s_andn2_saveexec_b64 s[4:5], s[4:5]
	s_cbranch_execz .LBB1_23
; %bb.22:
	s_mov_b32 s10, 0
	s_brev_b32 s11, 8
	v_cmp_lt_f64_e64 vcc, |v[10:11]|, s[10:11]
	v_mov_b32_e32 v8, 0x100
	v_mul_f64 v[14:15], v[14:15], -0.5
	v_cndmask_b32_e32 v8, 0, v8, vcc
	v_ldexp_f64 v[8:9], |v[10:11]|, v8
	v_mul_f64 v[12:13], v[12:13], v[14:15]
	v_rsq_f64_e32 v[10:11], v[8:9]
	v_mul_f64 v[17:18], v[8:9], v[10:11]
	v_mul_f64 v[10:11], v[10:11], 0.5
	v_fma_f64 v[19:20], -v[10:11], v[17:18], 0.5
	v_fma_f64 v[17:18], v[17:18], v[19:20], v[17:18]
	v_fma_f64 v[10:11], v[10:11], v[19:20], v[10:11]
	v_fma_f64 v[19:20], -v[17:18], v[17:18], v[8:9]
	v_fma_f64 v[17:18], v[19:20], v[10:11], v[17:18]
	v_fma_f64 v[19:20], -v[17:18], v[17:18], v[8:9]
	v_fma_f64 v[10:11], v[19:20], v[10:11], v[17:18]
	v_mov_b32_e32 v17, 0xffffff80
	v_mov_b32_e32 v18, 0x260
	v_cndmask_b32_e32 v17, 0, v17, vcc
	v_cmp_class_f64_e32 vcc, v[8:9], v18
	v_ldexp_f64 v[10:11], v[10:11], v17
	v_cndmask_b32_e32 v9, v11, v9, vcc
	v_cndmask_b32_e32 v8, v10, v8, vcc
	v_div_scale_f64 v[10:11], s[10:11], v[8:9], v[8:9], v[12:13]
	v_div_scale_f64 v[19:20], vcc, v[12:13], v[8:9], v[12:13]
	v_rcp_f64_e32 v[14:15], v[10:11]
	v_fma_f64 v[17:18], -v[10:11], v[14:15], 1.0
	v_fma_f64 v[14:15], v[14:15], v[17:18], v[14:15]
	v_fma_f64 v[17:18], -v[10:11], v[14:15], 1.0
	v_fma_f64 v[14:15], v[14:15], v[17:18], v[14:15]
	v_mul_f64 v[17:18], v[19:20], v[14:15]
	v_fma_f64 v[10:11], -v[10:11], v[17:18], v[19:20]
	v_div_fmas_f64 v[10:11], v[10:11], v[14:15], v[17:18]
	v_div_fixup_f64 v[8:9], v[10:11], v[8:9], v[12:13]
.LBB1_23:
	s_or_b64 exec, exec, s[4:5]
.LBB1_24:
	s_or_b64 exec, exec, s[8:9]
	s_mov_b32 s4, 0
	s_mov_b32 s5, 0x40200000
	v_cmp_le_f64_e64 s[4:5], |v[2:3]|, s[4:5]
                                        ; implicit-def: $vgpr10_vgpr11
	s_and_saveexec_b64 s[8:9], s[4:5]
	s_xor_b64 s[4:5], exec, s[8:9]
	s_cbranch_execz .LBB1_30
; %bb.25:
	v_fma_f64 v[10:11], |v[2:3]|, 0.5, -2.0
	v_mov_b32_e32 v12, 0xc38a0576
	v_mov_b32_e32 v13, 0xbc7857d0
	s_mov_b32 s9, 0x3c499f2a
	s_mov_b32 s8, 0xc3c4014
	v_mov_b32_e32 v17, 0xfca7ab0c
	v_mov_b32_e32 v18, 0x3e928af3
	v_cmp_ngt_f64_e32 vcc, 0, v[2:3]
	v_fma_f64 v[12:13], v[10:11], s[8:9], v[12:13]
	s_mov_b32 s9, 0xbc499f2a
	v_fma_f64 v[14:15], v[10:11], v[12:13], s[8:9]
	s_mov_b32 s8, 0xe593bfac
	s_mov_b32 s9, 0x3ca663e3
	v_add_f64 v[14:15], v[14:15], s[8:9]
	s_mov_b32 s8, 0x7e0d1573
	s_mov_b32 s9, 0xbcd3eaaa
	v_fma_f64 v[12:13], v[10:11], v[14:15], -v[12:13]
	v_add_f64 v[12:13], v[12:13], s[8:9]
	s_mov_b32 s8, 0x615290c
	s_mov_b32 s9, 0x3d011d7f
	v_fma_f64 v[14:15], v[10:11], v[12:13], -v[14:15]
	;; [unrolled: 4-line block ×26, first 2 shown]
	v_add_f64 v[10:11], v[10:11], s[8:9]
	s_mov_b32 s8, 0x652b82fe
	s_mov_b32 s9, 0x3ff71547
	v_add_f64 v[10:11], v[10:11], -v[14:15]
	v_mul_f64 v[10:11], v[10:11], 0.5
	v_mul_f64 v[12:13], |v[2:3]|, v[10:11]
	v_mul_f64 v[10:11], |v[2:3]|, s[8:9]
	s_mov_b32 s8, 0xfefa39ef
	s_mov_b32 s9, 0xbfe62e42
	v_rndne_f64_e32 v[10:11], v[10:11]
	v_fma_f64 v[14:15], v[10:11], s[8:9], |v[2:3]|
	s_mov_b32 s8, 0x3b39803f
	s_mov_b32 s9, 0xbc7abc9e
	v_fma_f64 v[14:15], v[10:11], s[8:9], v[14:15]
	s_mov_b32 s8, 0x6a5dcb37
	s_mov_b32 s9, 0x3e5ade15
	v_fma_f64 v[17:18], v[14:15], s[8:9], v[17:18]
	s_mov_b32 s8, 0x623fde64
	s_mov_b32 s9, 0x3ec71dee
	v_fma_f64 v[17:18], v[14:15], v[17:18], s[8:9]
	s_mov_b32 s8, 0x7c89e6b0
	s_mov_b32 s9, 0x3efa0199
	v_fma_f64 v[17:18], v[14:15], v[17:18], s[8:9]
	s_mov_b32 s8, 0x14761f6e
	s_mov_b32 s9, 0x3f2a01a0
	v_fma_f64 v[17:18], v[14:15], v[17:18], s[8:9]
	s_mov_b32 s8, 0x1852b7b0
	s_mov_b32 s9, 0x3f56c16c
	v_fma_f64 v[17:18], v[14:15], v[17:18], s[8:9]
	s_mov_b32 s8, 0x11122322
	s_mov_b32 s9, 0x3f811111
	v_fma_f64 v[17:18], v[14:15], v[17:18], s[8:9]
	s_mov_b32 s8, 0x555502a1
	s_mov_b32 s9, 0x3fa55555
	v_fma_f64 v[17:18], v[14:15], v[17:18], s[8:9]
	s_mov_b32 s8, 0x55555511
	s_mov_b32 s9, 0x3fc55555
	v_fma_f64 v[17:18], v[14:15], v[17:18], s[8:9]
	s_mov_b32 s8, 11
	s_mov_b32 s9, 0x3fe00000
	v_fma_f64 v[17:18], v[14:15], v[17:18], s[8:9]
	v_fma_f64 v[17:18], v[14:15], v[17:18], 1.0
	v_fma_f64 v[14:15], v[14:15], v[17:18], 1.0
	v_cvt_i32_f64_e32 v17, v[10:11]
                                        ; implicit-def: $vgpr10_vgpr11
	s_and_saveexec_b64 s[8:9], vcc
	s_xor_b64 s[8:9], exec, s[8:9]
	s_cbranch_execz .LBB1_27
; %bb.26:
	s_mov_b32 s10, 0
	s_mov_b32 s11, 0x40900000
	v_ldexp_f64 v[10:11], v[14:15], v17
	v_cmp_ngt_f64_e64 vcc, |v[2:3]|, s[10:11]
	v_mov_b32_e32 v14, 0x7ff00000
                                        ; implicit-def: $vgpr17
	v_cndmask_b32_e32 v11, v14, v11, vcc
	v_cndmask_b32_e32 v10, 0, v10, vcc
	v_mul_f64 v[10:11], v[10:11], v[12:13]
                                        ; implicit-def: $vgpr14_vgpr15
                                        ; implicit-def: $vgpr12_vgpr13
.LBB1_27:
	s_andn2_saveexec_b64 s[8:9], s[8:9]
	s_cbranch_execz .LBB1_29
; %bb.28:
	s_mov_b32 s10, 0
	s_mov_b32 s11, 0x40900000
	v_ldexp_f64 v[10:11], -v[14:15], v17
	v_cmp_ngt_f64_e64 vcc, |v[2:3]|, s[10:11]
	v_mov_b32_e32 v14, 0xfff00000
	v_cndmask_b32_e32 v11, v14, v11, vcc
	v_cndmask_b32_e32 v10, 0, v10, vcc
	v_mul_f64 v[10:11], v[10:11], v[12:13]
.LBB1_29:
	s_or_b64 exec, exec, s[8:9]
.LBB1_30:
	s_andn2_saveexec_b64 s[8:9], s[4:5]
	s_cbranch_execz .LBB1_36
; %bb.31:
	s_mov_b32 s4, 0
	v_and_b32_e32 v11, 0x7fffffff, v3
	v_mov_b32_e32 v10, v2
	s_mov_b32 s5, 0x40400000
	v_div_scale_f64 v[12:13], s[10:11], v[10:11], v[10:11], s[4:5]
	v_div_scale_f64 v[10:11], vcc, s[4:5], v[10:11], s[4:5]
	v_mov_b32_e32 v19, 0xfca7ab0c
	v_mov_b32_e32 v20, 0x3e928af3
	v_rcp_f64_e32 v[14:15], v[12:13]
	v_fma_f64 v[17:18], -v[12:13], v[14:15], 1.0
	v_fma_f64 v[14:15], v[14:15], v[17:18], v[14:15]
	v_fma_f64 v[17:18], -v[12:13], v[14:15], 1.0
	v_fma_f64 v[14:15], v[14:15], v[17:18], v[14:15]
	v_mul_f64 v[17:18], v[10:11], v[14:15]
	v_fma_f64 v[10:11], -v[12:13], v[17:18], v[10:11]
	v_mov_b32_e32 v12, 0xea87b950
	v_mov_b32_e32 v13, 0x3c545b8a
	v_div_fmas_f64 v[10:11], v[10:11], v[14:15], v[17:18]
	v_cmp_ngt_f64_e32 vcc, 0, v[2:3]
	v_div_fixup_f64 v[10:11], v[10:11], |v[2:3]|, s[4:5]
	s_mov_b32 s5, 0x3c61556d
	s_mov_b32 s4, 0xb352e8e6
	v_add_f64 v[10:11], v[10:11], -2.0
	v_fma_f64 v[12:13], v[10:11], s[4:5], v[12:13]
	s_mov_b32 s5, 0xbc61556d
	v_fma_f64 v[14:15], v[10:11], v[12:13], s[4:5]
	s_mov_b32 s4, 0xb2532277
	s_mov_b32 s5, 0xbc8acea3
	v_add_f64 v[14:15], v[14:15], s[4:5]
	s_mov_b32 s4, 0x9c773320
	s_mov_b32 s5, 0xbc82806c
	v_fma_f64 v[12:13], v[10:11], v[14:15], -v[12:13]
	v_add_f64 v[12:13], v[12:13], s[4:5]
	s_mov_b32 s4, 0xfceb588a
	s_mov_b32 s5, 0x3cb55915
	v_fma_f64 v[14:15], v[10:11], v[12:13], -v[14:15]
	;; [unrolled: 4-line block ×22, first 2 shown]
	v_add_f64 v[10:11], v[10:11], s[4:5]
	s_mov_b32 s4, 0x652b82fe
	s_mov_b32 s5, 0x3ff71547
	v_mul_f64 v[12:13], |v[2:3]|, s[4:5]
	s_mov_b32 s4, 0xfefa39ef
	s_mov_b32 s5, 0xbfe62e42
	v_add_f64 v[14:15], v[10:11], -v[14:15]
                                        ; implicit-def: $vgpr10_vgpr11
	v_rndne_f64_e32 v[12:13], v[12:13]
	v_fma_f64 v[17:18], v[12:13], s[4:5], |v[2:3]|
	s_mov_b32 s4, 0x3b39803f
	s_mov_b32 s5, 0xbc7abc9e
	v_fma_f64 v[17:18], v[12:13], s[4:5], v[17:18]
	s_mov_b32 s4, 0x6a5dcb37
	s_mov_b32 s5, 0x3e5ade15
	v_cvt_i32_f64_e32 v12, v[12:13]
	v_fma_f64 v[19:20], v[17:18], s[4:5], v[19:20]
	s_mov_b32 s4, 0x623fde64
	s_mov_b32 s5, 0x3ec71dee
	v_fma_f64 v[19:20], v[17:18], v[19:20], s[4:5]
	s_mov_b32 s4, 0x7c89e6b0
	s_mov_b32 s5, 0x3efa0199
	;; [unrolled: 3-line block ×9, first 2 shown]
	v_cmp_ngt_f64_e64 s[4:5], |v[2:3]|, s[4:5]
	v_fma_f64 v[19:20], v[17:18], v[19:20], 1.0
	v_fma_f64 v[17:18], v[17:18], v[19:20], 1.0
	v_ldexp_f64 v[12:13], v[17:18], v12
	v_mov_b32_e32 v17, 0x7ff00000
	v_cndmask_b32_e64 v13, v17, v13, s[4:5]
	v_cndmask_b32_e64 v12, 0, v12, s[4:5]
	s_and_saveexec_b64 s[4:5], vcc
	s_xor_b64 s[4:5], exec, s[4:5]
	s_cbranch_execz .LBB1_33
; %bb.32:
	s_mov_b32 s10, 0
	s_brev_b32 s11, 8
	v_cmp_lt_f64_e64 vcc, |v[2:3]|, s[10:11]
	v_mov_b32_e32 v10, 0x100
	v_mul_f64 v[14:15], v[14:15], 0.5
	v_cndmask_b32_e32 v10, 0, v10, vcc
	v_ldexp_f64 v[10:11], |v[2:3]|, v10
	v_mul_f64 v[12:13], v[12:13], v[14:15]
	v_rsq_f64_e32 v[17:18], v[10:11]
	v_mul_f64 v[19:20], v[10:11], v[17:18]
	v_mul_f64 v[17:18], v[17:18], 0.5
	v_fma_f64 v[21:22], -v[17:18], v[19:20], 0.5
	v_fma_f64 v[19:20], v[19:20], v[21:22], v[19:20]
	v_fma_f64 v[17:18], v[17:18], v[21:22], v[17:18]
	v_fma_f64 v[21:22], -v[19:20], v[19:20], v[10:11]
	v_fma_f64 v[19:20], v[21:22], v[17:18], v[19:20]
	v_fma_f64 v[21:22], -v[19:20], v[19:20], v[10:11]
	v_fma_f64 v[17:18], v[21:22], v[17:18], v[19:20]
	v_mov_b32_e32 v19, 0xffffff80
	v_mov_b32_e32 v20, 0x260
	v_cndmask_b32_e32 v19, 0, v19, vcc
	v_cmp_class_f64_e32 vcc, v[10:11], v20
	v_ldexp_f64 v[17:18], v[17:18], v19
	v_cndmask_b32_e32 v11, v18, v11, vcc
	v_cndmask_b32_e32 v10, v17, v10, vcc
	v_div_scale_f64 v[14:15], s[10:11], v[10:11], v[10:11], v[12:13]
	v_div_scale_f64 v[21:22], vcc, v[12:13], v[10:11], v[12:13]
	v_rcp_f64_e32 v[17:18], v[14:15]
	v_fma_f64 v[19:20], -v[14:15], v[17:18], 1.0
	v_fma_f64 v[17:18], v[17:18], v[19:20], v[17:18]
	v_fma_f64 v[19:20], -v[14:15], v[17:18], 1.0
	v_fma_f64 v[17:18], v[17:18], v[19:20], v[17:18]
	v_mul_f64 v[19:20], v[21:22], v[17:18]
	v_fma_f64 v[14:15], -v[14:15], v[19:20], v[21:22]
	v_div_fmas_f64 v[14:15], v[14:15], v[17:18], v[19:20]
	v_div_fixup_f64 v[10:11], v[14:15], v[10:11], v[12:13]
                                        ; implicit-def: $vgpr14_vgpr15
                                        ; implicit-def: $vgpr12_vgpr13
.LBB1_33:
	s_andn2_saveexec_b64 s[4:5], s[4:5]
	s_cbranch_execz .LBB1_35
; %bb.34:
	s_mov_b32 s10, 0
	s_brev_b32 s11, 8
	v_cmp_lt_f64_e64 vcc, |v[2:3]|, s[10:11]
	v_mov_b32_e32 v10, 0x100
	v_mul_f64 v[14:15], v[14:15], -0.5
	v_cndmask_b32_e32 v10, 0, v10, vcc
	v_ldexp_f64 v[2:3], |v[2:3]|, v10
	v_mul_f64 v[12:13], v[12:13], v[14:15]
	v_rsq_f64_e32 v[10:11], v[2:3]
	v_mul_f64 v[17:18], v[2:3], v[10:11]
	v_mul_f64 v[10:11], v[10:11], 0.5
	v_fma_f64 v[19:20], -v[10:11], v[17:18], 0.5
	v_fma_f64 v[17:18], v[17:18], v[19:20], v[17:18]
	v_fma_f64 v[10:11], v[10:11], v[19:20], v[10:11]
	v_fma_f64 v[19:20], -v[17:18], v[17:18], v[2:3]
	v_fma_f64 v[17:18], v[19:20], v[10:11], v[17:18]
	v_fma_f64 v[19:20], -v[17:18], v[17:18], v[2:3]
	v_fma_f64 v[10:11], v[19:20], v[10:11], v[17:18]
	v_mov_b32_e32 v17, 0xffffff80
	v_mov_b32_e32 v18, 0x260
	v_cndmask_b32_e32 v17, 0, v17, vcc
	v_cmp_class_f64_e32 vcc, v[2:3], v18
	v_ldexp_f64 v[10:11], v[10:11], v17
	v_cndmask_b32_e32 v3, v11, v3, vcc
	v_cndmask_b32_e32 v2, v10, v2, vcc
	v_div_scale_f64 v[10:11], s[10:11], v[2:3], v[2:3], v[12:13]
	v_div_scale_f64 v[19:20], vcc, v[12:13], v[2:3], v[12:13]
	v_rcp_f64_e32 v[14:15], v[10:11]
	v_fma_f64 v[17:18], -v[10:11], v[14:15], 1.0
	v_fma_f64 v[14:15], v[14:15], v[17:18], v[14:15]
	v_fma_f64 v[17:18], -v[10:11], v[14:15], 1.0
	v_fma_f64 v[14:15], v[14:15], v[17:18], v[14:15]
	v_mul_f64 v[17:18], v[19:20], v[14:15]
	v_fma_f64 v[10:11], -v[10:11], v[17:18], v[19:20]
	v_div_fmas_f64 v[10:11], v[10:11], v[14:15], v[17:18]
	v_div_fixup_f64 v[10:11], v[10:11], v[2:3], v[12:13]
.LBB1_35:
	s_or_b64 exec, exec, s[4:5]
.LBB1_36:
	s_or_b64 exec, exec, s[8:9]
	s_mov_b32 s4, 0
	s_mov_b32 s5, 0x40200000
	v_cmp_le_f64_e64 s[4:5], |v[4:5]|, s[4:5]
	s_and_saveexec_b64 s[8:9], s[4:5]
	s_xor_b64 s[4:5], exec, s[8:9]
	s_cbranch_execz .LBB1_42
; %bb.37:
	v_fma_f64 v[2:3], |v[4:5]|, 0.5, -2.0
	v_mov_b32_e32 v12, 0xc38a0576
	v_mov_b32_e32 v13, 0xbc7857d0
	s_mov_b32 s9, 0x3c499f2a
	s_mov_b32 s8, 0xc3c4014
	v_mov_b32_e32 v17, 0xfca7ab0c
	v_mov_b32_e32 v18, 0x3e928af3
	v_cmp_ngt_f64_e32 vcc, 0, v[4:5]
	v_fma_f64 v[12:13], v[2:3], s[8:9], v[12:13]
	s_mov_b32 s9, 0xbc499f2a
	v_fma_f64 v[14:15], v[2:3], v[12:13], s[8:9]
	s_mov_b32 s8, 0xe593bfac
	s_mov_b32 s9, 0x3ca663e3
	v_add_f64 v[14:15], v[14:15], s[8:9]
	s_mov_b32 s8, 0x7e0d1573
	s_mov_b32 s9, 0xbcd3eaaa
	v_fma_f64 v[12:13], v[2:3], v[14:15], -v[12:13]
	v_add_f64 v[12:13], v[12:13], s[8:9]
	s_mov_b32 s8, 0x615290c
	s_mov_b32 s9, 0x3d011d7f
	v_fma_f64 v[14:15], v[2:3], v[12:13], -v[14:15]
	;; [unrolled: 4-line block ×26, first 2 shown]
	v_add_f64 v[2:3], v[2:3], s[8:9]
	s_mov_b32 s8, 0x652b82fe
	s_mov_b32 s9, 0x3ff71547
	v_mul_f64 v[12:13], |v[4:5]|, s[8:9]
	s_mov_b32 s8, 0xfefa39ef
	s_mov_b32 s9, 0xbfe62e42
	v_add_f64 v[2:3], v[2:3], -v[14:15]
	v_rndne_f64_e32 v[12:13], v[12:13]
	v_mul_f64 v[2:3], v[2:3], 0.5
	v_fma_f64 v[14:15], v[12:13], s[8:9], |v[4:5]|
	s_mov_b32 s8, 0x3b39803f
	s_mov_b32 s9, 0xbc7abc9e
	v_mul_f64 v[2:3], |v[4:5]|, v[2:3]
	v_fma_f64 v[14:15], v[12:13], s[8:9], v[14:15]
	s_mov_b32 s8, 0x6a5dcb37
	s_mov_b32 s9, 0x3e5ade15
	v_fma_f64 v[17:18], v[14:15], s[8:9], v[17:18]
	s_mov_b32 s8, 0x623fde64
	s_mov_b32 s9, 0x3ec71dee
	;; [unrolled: 3-line block ×9, first 2 shown]
	v_fma_f64 v[17:18], v[14:15], v[17:18], s[8:9]
	v_fma_f64 v[17:18], v[14:15], v[17:18], 1.0
	v_fma_f64 v[14:15], v[14:15], v[17:18], 1.0
	v_cvt_i32_f64_e32 v17, v[12:13]
	s_and_saveexec_b64 s[8:9], vcc
	s_xor_b64 s[8:9], exec, s[8:9]
	s_cbranch_execz .LBB1_39
; %bb.38:
	s_mov_b32 s10, 0
	s_mov_b32 s11, 0x40900000
	v_ldexp_f64 v[12:13], v[14:15], v17
	v_cmp_ngt_f64_e64 vcc, |v[4:5]|, s[10:11]
	v_mov_b32_e32 v14, 0x7ff00000
                                        ; implicit-def: $vgpr17
	v_cndmask_b32_e32 v5, v14, v13, vcc
	v_cndmask_b32_e32 v4, 0, v12, vcc
	v_mul_f64 v[12:13], v[4:5], v[2:3]
                                        ; implicit-def: $vgpr14_vgpr15
                                        ; implicit-def: $vgpr4_vgpr5
                                        ; implicit-def: $vgpr2_vgpr3
.LBB1_39:
	s_andn2_saveexec_b64 s[8:9], s[8:9]
	s_cbranch_execz .LBB1_41
; %bb.40:
	s_mov_b32 s10, 0
	s_mov_b32 s11, 0x40900000
	v_ldexp_f64 v[12:13], -v[14:15], v17
	v_cmp_ngt_f64_e64 vcc, |v[4:5]|, s[10:11]
	v_mov_b32_e32 v14, 0xfff00000
	v_cndmask_b32_e32 v5, v14, v13, vcc
	v_cndmask_b32_e32 v4, 0, v12, vcc
	v_mul_f64 v[12:13], v[4:5], v[2:3]
.LBB1_41:
	s_or_b64 exec, exec, s[8:9]
                                        ; implicit-def: $vgpr4_vgpr5
.LBB1_42:
	s_andn2_saveexec_b64 s[8:9], s[4:5]
	s_cbranch_execz .LBB1_48
; %bb.43:
	s_mov_b32 s4, 0
	v_and_b32_e32 v3, 0x7fffffff, v5
	v_mov_b32_e32 v2, v4
	s_mov_b32 s5, 0x40400000
	v_div_scale_f64 v[12:13], s[10:11], v[2:3], v[2:3], s[4:5]
	v_div_scale_f64 v[2:3], vcc, s[4:5], v[2:3], s[4:5]
	v_mov_b32_e32 v19, 0xfca7ab0c
	v_mov_b32_e32 v20, 0x3e928af3
	v_rcp_f64_e32 v[14:15], v[12:13]
	v_fma_f64 v[17:18], -v[12:13], v[14:15], 1.0
	v_fma_f64 v[14:15], v[14:15], v[17:18], v[14:15]
	v_fma_f64 v[17:18], -v[12:13], v[14:15], 1.0
	v_fma_f64 v[14:15], v[14:15], v[17:18], v[14:15]
	v_mul_f64 v[17:18], v[2:3], v[14:15]
	v_fma_f64 v[2:3], -v[12:13], v[17:18], v[2:3]
	v_mov_b32_e32 v12, 0xea87b950
	v_mov_b32_e32 v13, 0x3c545b8a
	v_div_fmas_f64 v[2:3], v[2:3], v[14:15], v[17:18]
	v_cmp_ngt_f64_e32 vcc, 0, v[4:5]
	v_div_fixup_f64 v[2:3], v[2:3], |v[4:5]|, s[4:5]
	s_mov_b32 s5, 0x3c61556d
	s_mov_b32 s4, 0xb352e8e6
	v_add_f64 v[2:3], v[2:3], -2.0
	v_fma_f64 v[12:13], v[2:3], s[4:5], v[12:13]
	s_mov_b32 s5, 0xbc61556d
	v_fma_f64 v[14:15], v[2:3], v[12:13], s[4:5]
	s_mov_b32 s4, 0xb2532277
	s_mov_b32 s5, 0xbc8acea3
	v_add_f64 v[14:15], v[14:15], s[4:5]
	s_mov_b32 s4, 0x9c773320
	s_mov_b32 s5, 0xbc82806c
	v_fma_f64 v[12:13], v[2:3], v[14:15], -v[12:13]
	v_add_f64 v[12:13], v[12:13], s[4:5]
	s_mov_b32 s4, 0xfceb588a
	s_mov_b32 s5, 0x3cb55915
	v_fma_f64 v[14:15], v[2:3], v[12:13], -v[14:15]
	;; [unrolled: 4-line block ×22, first 2 shown]
	v_add_f64 v[12:13], v[2:3], s[4:5]
	s_mov_b32 s4, 0x652b82fe
	s_mov_b32 s5, 0x3ff71547
	v_mul_f64 v[2:3], |v[4:5]|, s[4:5]
	s_mov_b32 s4, 0xfefa39ef
	s_mov_b32 s5, 0xbfe62e42
	v_add_f64 v[14:15], v[12:13], -v[14:15]
	v_rndne_f64_e32 v[2:3], v[2:3]
	v_fma_f64 v[17:18], v[2:3], s[4:5], |v[4:5]|
	s_mov_b32 s4, 0x3b39803f
	s_mov_b32 s5, 0xbc7abc9e
	v_fma_f64 v[17:18], v[2:3], s[4:5], v[17:18]
	s_mov_b32 s4, 0x6a5dcb37
	s_mov_b32 s5, 0x3e5ade15
	v_cvt_i32_f64_e32 v2, v[2:3]
	v_fma_f64 v[19:20], v[17:18], s[4:5], v[19:20]
	s_mov_b32 s4, 0x623fde64
	s_mov_b32 s5, 0x3ec71dee
	v_fma_f64 v[19:20], v[17:18], v[19:20], s[4:5]
	s_mov_b32 s4, 0x7c89e6b0
	s_mov_b32 s5, 0x3efa0199
	;; [unrolled: 3-line block ×9, first 2 shown]
	v_cmp_ngt_f64_e64 s[4:5], |v[4:5]|, s[4:5]
	v_fma_f64 v[19:20], v[17:18], v[19:20], 1.0
	v_fma_f64 v[17:18], v[17:18], v[19:20], 1.0
	v_ldexp_f64 v[2:3], v[17:18], v2
	v_mov_b32_e32 v17, 0x7ff00000
	v_cndmask_b32_e64 v3, v17, v3, s[4:5]
	v_cndmask_b32_e64 v2, 0, v2, s[4:5]
	s_and_saveexec_b64 s[4:5], vcc
	s_xor_b64 s[4:5], exec, s[4:5]
	s_cbranch_execz .LBB1_45
; %bb.44:
	s_mov_b32 s10, 0
	s_brev_b32 s11, 8
	v_cmp_lt_f64_e64 vcc, |v[4:5]|, s[10:11]
	v_mov_b32_e32 v12, 0x100
	v_mul_f64 v[14:15], v[14:15], 0.5
	v_cndmask_b32_e32 v12, 0, v12, vcc
	v_ldexp_f64 v[4:5], |v[4:5]|, v12
	v_mul_f64 v[2:3], v[2:3], v[14:15]
	v_rsq_f64_e32 v[12:13], v[4:5]
	v_mul_f64 v[17:18], v[4:5], v[12:13]
	v_mul_f64 v[12:13], v[12:13], 0.5
	v_fma_f64 v[19:20], -v[12:13], v[17:18], 0.5
	v_fma_f64 v[17:18], v[17:18], v[19:20], v[17:18]
	v_fma_f64 v[12:13], v[12:13], v[19:20], v[12:13]
	v_fma_f64 v[19:20], -v[17:18], v[17:18], v[4:5]
	v_fma_f64 v[17:18], v[19:20], v[12:13], v[17:18]
	v_fma_f64 v[19:20], -v[17:18], v[17:18], v[4:5]
	v_fma_f64 v[12:13], v[19:20], v[12:13], v[17:18]
	v_mov_b32_e32 v17, 0xffffff80
	v_mov_b32_e32 v18, 0x260
	v_cndmask_b32_e32 v17, 0, v17, vcc
	v_cmp_class_f64_e32 vcc, v[4:5], v18
	v_ldexp_f64 v[12:13], v[12:13], v17
	v_cndmask_b32_e32 v5, v13, v5, vcc
	v_cndmask_b32_e32 v4, v12, v4, vcc
	v_div_scale_f64 v[12:13], s[10:11], v[4:5], v[4:5], v[2:3]
	v_div_scale_f64 v[19:20], vcc, v[2:3], v[4:5], v[2:3]
	v_rcp_f64_e32 v[14:15], v[12:13]
	v_fma_f64 v[17:18], -v[12:13], v[14:15], 1.0
	v_fma_f64 v[14:15], v[14:15], v[17:18], v[14:15]
	v_fma_f64 v[17:18], -v[12:13], v[14:15], 1.0
	v_fma_f64 v[14:15], v[14:15], v[17:18], v[14:15]
	v_mul_f64 v[17:18], v[19:20], v[14:15]
	v_fma_f64 v[12:13], -v[12:13], v[17:18], v[19:20]
	v_div_fmas_f64 v[12:13], v[12:13], v[14:15], v[17:18]
                                        ; implicit-def: $vgpr14_vgpr15
	v_div_fixup_f64 v[12:13], v[12:13], v[4:5], v[2:3]
                                        ; implicit-def: $vgpr4_vgpr5
                                        ; implicit-def: $vgpr2_vgpr3
.LBB1_45:
	s_andn2_saveexec_b64 s[4:5], s[4:5]
	s_cbranch_execz .LBB1_47
; %bb.46:
	s_mov_b32 s10, 0
	s_brev_b32 s11, 8
	v_cmp_lt_f64_e64 vcc, |v[4:5]|, s[10:11]
	v_mov_b32_e32 v12, 0x100
	v_mul_f64 v[14:15], v[14:15], -0.5
	v_cndmask_b32_e32 v12, 0, v12, vcc
	v_ldexp_f64 v[4:5], |v[4:5]|, v12
	v_mul_f64 v[2:3], v[2:3], v[14:15]
	v_rsq_f64_e32 v[12:13], v[4:5]
	v_mul_f64 v[17:18], v[4:5], v[12:13]
	v_mul_f64 v[12:13], v[12:13], 0.5
	v_fma_f64 v[19:20], -v[12:13], v[17:18], 0.5
	v_fma_f64 v[17:18], v[17:18], v[19:20], v[17:18]
	v_fma_f64 v[12:13], v[12:13], v[19:20], v[12:13]
	v_fma_f64 v[19:20], -v[17:18], v[17:18], v[4:5]
	v_fma_f64 v[17:18], v[19:20], v[12:13], v[17:18]
	v_fma_f64 v[19:20], -v[17:18], v[17:18], v[4:5]
	v_fma_f64 v[12:13], v[19:20], v[12:13], v[17:18]
	v_mov_b32_e32 v17, 0xffffff80
	v_mov_b32_e32 v18, 0x260
	v_cndmask_b32_e32 v17, 0, v17, vcc
	v_cmp_class_f64_e32 vcc, v[4:5], v18
	v_ldexp_f64 v[12:13], v[12:13], v17
	v_cndmask_b32_e32 v5, v13, v5, vcc
	v_cndmask_b32_e32 v4, v12, v4, vcc
	v_div_scale_f64 v[12:13], s[10:11], v[4:5], v[4:5], v[2:3]
	v_div_scale_f64 v[19:20], vcc, v[2:3], v[4:5], v[2:3]
	v_rcp_f64_e32 v[14:15], v[12:13]
	v_fma_f64 v[17:18], -v[12:13], v[14:15], 1.0
	v_fma_f64 v[14:15], v[14:15], v[17:18], v[14:15]
	v_fma_f64 v[17:18], -v[12:13], v[14:15], 1.0
	v_fma_f64 v[14:15], v[14:15], v[17:18], v[14:15]
	v_mul_f64 v[17:18], v[19:20], v[14:15]
	v_fma_f64 v[12:13], -v[12:13], v[17:18], v[19:20]
	v_div_fmas_f64 v[12:13], v[12:13], v[14:15], v[17:18]
	v_div_fixup_f64 v[12:13], v[12:13], v[4:5], v[2:3]
.LBB1_47:
	s_or_b64 exec, exec, s[4:5]
.LBB1_48:
	s_or_b64 exec, exec, s[8:9]
	v_mov_b32_e32 v2, s7
	v_add_co_u32_e32 v0, vcc, s6, v0
	v_addc_co_u32_e32 v1, vcc, v1, v2, vcc
	v_add_co_u32_e32 v0, vcc, v0, v16
	v_addc_co_u32_e32 v1, vcc, 0, v1, vcc
	flat_store_dwordx4 v[0:1], v[6:9]
	flat_store_dwordx4 v[0:1], v[10:13] offset:16
	s_waitcnt vmcnt(0) lgkmcnt(0)
	s_setpc_b64 s[30:31]
.Lfunc_end1:
	.size	_ZN2at6native25elementwise_kernel_helperILb0EZZZNS0_12_GLOBAL__N_130modified_bessel_i1_kernel_cudaERNS_18TensorIteratorBaseEENKUlvE_clEvENKUlvE_clEvEUldE_NS0_6memory8policies10vectorizedILi4ESt5arrayIPcLm2EELi4EEEEEvT0_T1_, .Lfunc_end1-_ZN2at6native25elementwise_kernel_helperILb0EZZZNS0_12_GLOBAL__N_130modified_bessel_i1_kernel_cudaERNS_18TensorIteratorBaseEENKUlvE_clEvENKUlvE_clEvEUldE_NS0_6memory8policies10vectorizedILi4ESt5arrayIPcLm2EELi4EEEEEvT0_T1_
                                        ; -- End function
	.set .L_ZN2at6native25elementwise_kernel_helperILb0EZZZNS0_12_GLOBAL__N_130modified_bessel_i1_kernel_cudaERNS_18TensorIteratorBaseEENKUlvE_clEvENKUlvE_clEvEUldE_NS0_6memory8policies10vectorizedILi4ESt5arrayIPcLm2EELi4EEEEEvT0_T1_.num_vgpr, 32
	.set .L_ZN2at6native25elementwise_kernel_helperILb0EZZZNS0_12_GLOBAL__N_130modified_bessel_i1_kernel_cudaERNS_18TensorIteratorBaseEENKUlvE_clEvENKUlvE_clEvEUldE_NS0_6memory8policies10vectorizedILi4ESt5arrayIPcLm2EELi4EEEEEvT0_T1_.num_agpr, 0
	.set .L_ZN2at6native25elementwise_kernel_helperILb0EZZZNS0_12_GLOBAL__N_130modified_bessel_i1_kernel_cudaERNS_18TensorIteratorBaseEENKUlvE_clEvENKUlvE_clEvEUldE_NS0_6memory8policies10vectorizedILi4ESt5arrayIPcLm2EELi4EEEEEvT0_T1_.numbered_sgpr, 32
	.set .L_ZN2at6native25elementwise_kernel_helperILb0EZZZNS0_12_GLOBAL__N_130modified_bessel_i1_kernel_cudaERNS_18TensorIteratorBaseEENKUlvE_clEvENKUlvE_clEvEUldE_NS0_6memory8policies10vectorizedILi4ESt5arrayIPcLm2EELi4EEEEEvT0_T1_.num_named_barrier, 0
	.set .L_ZN2at6native25elementwise_kernel_helperILb0EZZZNS0_12_GLOBAL__N_130modified_bessel_i1_kernel_cudaERNS_18TensorIteratorBaseEENKUlvE_clEvENKUlvE_clEvEUldE_NS0_6memory8policies10vectorizedILi4ESt5arrayIPcLm2EELi4EEEEEvT0_T1_.private_seg_size, 0
	.set .L_ZN2at6native25elementwise_kernel_helperILb0EZZZNS0_12_GLOBAL__N_130modified_bessel_i1_kernel_cudaERNS_18TensorIteratorBaseEENKUlvE_clEvENKUlvE_clEvEUldE_NS0_6memory8policies10vectorizedILi4ESt5arrayIPcLm2EELi4EEEEEvT0_T1_.uses_vcc, 1
	.set .L_ZN2at6native25elementwise_kernel_helperILb0EZZZNS0_12_GLOBAL__N_130modified_bessel_i1_kernel_cudaERNS_18TensorIteratorBaseEENKUlvE_clEvENKUlvE_clEvEUldE_NS0_6memory8policies10vectorizedILi4ESt5arrayIPcLm2EELi4EEEEEvT0_T1_.uses_flat_scratch, 0
	.set .L_ZN2at6native25elementwise_kernel_helperILb0EZZZNS0_12_GLOBAL__N_130modified_bessel_i1_kernel_cudaERNS_18TensorIteratorBaseEENKUlvE_clEvENKUlvE_clEvEUldE_NS0_6memory8policies10vectorizedILi4ESt5arrayIPcLm2EELi4EEEEEvT0_T1_.has_dyn_sized_stack, 0
	.set .L_ZN2at6native25elementwise_kernel_helperILb0EZZZNS0_12_GLOBAL__N_130modified_bessel_i1_kernel_cudaERNS_18TensorIteratorBaseEENKUlvE_clEvENKUlvE_clEvEUldE_NS0_6memory8policies10vectorizedILi4ESt5arrayIPcLm2EELi4EEEEEvT0_T1_.has_recursion, 0
	.set .L_ZN2at6native25elementwise_kernel_helperILb0EZZZNS0_12_GLOBAL__N_130modified_bessel_i1_kernel_cudaERNS_18TensorIteratorBaseEENKUlvE_clEvENKUlvE_clEvEUldE_NS0_6memory8policies10vectorizedILi4ESt5arrayIPcLm2EELi4EEEEEvT0_T1_.has_indirect_call, 0
	.section	.AMDGPU.csdata,"",@progbits
; Function info:
; codeLenInByte = 13152
; TotalNumSgprs: 36
; NumVgprs: 32
; ScratchSize: 0
; MemoryBound: 0
	.section	.text._ZN2at6native29vectorized_elementwise_kernelILi16EZZZNS0_12_GLOBAL__N_130modified_bessel_i1_kernel_cudaERNS_18TensorIteratorBaseEENKUlvE_clEvENKUlvE_clEvEUldE_St5arrayIPcLm2EEEEviT0_T1_,"axG",@progbits,_ZN2at6native29vectorized_elementwise_kernelILi16EZZZNS0_12_GLOBAL__N_130modified_bessel_i1_kernel_cudaERNS_18TensorIteratorBaseEENKUlvE_clEvENKUlvE_clEvEUldE_St5arrayIPcLm2EEEEviT0_T1_,comdat
	.globl	_ZN2at6native29vectorized_elementwise_kernelILi16EZZZNS0_12_GLOBAL__N_130modified_bessel_i1_kernel_cudaERNS_18TensorIteratorBaseEENKUlvE_clEvENKUlvE_clEvEUldE_St5arrayIPcLm2EEEEviT0_T1_ ; -- Begin function _ZN2at6native29vectorized_elementwise_kernelILi16EZZZNS0_12_GLOBAL__N_130modified_bessel_i1_kernel_cudaERNS_18TensorIteratorBaseEENKUlvE_clEvENKUlvE_clEvEUldE_St5arrayIPcLm2EEEEviT0_T1_
	.p2align	8
	.type	_ZN2at6native29vectorized_elementwise_kernelILi16EZZZNS0_12_GLOBAL__N_130modified_bessel_i1_kernel_cudaERNS_18TensorIteratorBaseEENKUlvE_clEvENKUlvE_clEvEUldE_St5arrayIPcLm2EEEEviT0_T1_,@function
_ZN2at6native29vectorized_elementwise_kernelILi16EZZZNS0_12_GLOBAL__N_130modified_bessel_i1_kernel_cudaERNS_18TensorIteratorBaseEENKUlvE_clEvENKUlvE_clEvEUldE_St5arrayIPcLm2EEEEviT0_T1_: ; @_ZN2at6native29vectorized_elementwise_kernelILi16EZZZNS0_12_GLOBAL__N_130modified_bessel_i1_kernel_cudaERNS_18TensorIteratorBaseEENKUlvE_clEvENKUlvE_clEvEUldE_St5arrayIPcLm2EEEEviT0_T1_
; %bb.0:
	s_mov_b32 s12, s6
	s_load_dword s6, s[4:5], 0x0
	s_load_dwordx4 s[16:19], s[4:5], 0x8
	s_add_u32 s0, s0, s7
	s_addc_u32 s1, s1, 0
	s_lshl_b32 s4, s12, 10
	s_waitcnt lgkmcnt(0)
	s_sub_i32 s13, s6, s4
	v_mov_b32_e32 v31, v0
	s_cmpk_gt_i32 s13, 0x3ff
	s_mov_b64 s[4:5], -1
	s_mov_b32 s32, 0
	s_cbranch_scc1 .LBB2_3
; %bb.1:
	s_andn2_b64 vcc, exec, s[4:5]
	s_cbranch_vccz .LBB2_4
.LBB2_2:
	s_endpgm
.LBB2_3:
	s_getpc_b64 s[4:5]
	s_add_u32 s4, s4, _ZN2at6native25elementwise_kernel_helperILb0EZZZNS0_12_GLOBAL__N_130modified_bessel_i1_kernel_cudaERNS_18TensorIteratorBaseEENKUlvE_clEvENKUlvE_clEvEUldE_NS0_6memory8policies10vectorizedILi4ESt5arrayIPcLm2EELi4EEEEEvT0_T1_@rel32@lo+4
	s_addc_u32 s5, s5, _ZN2at6native25elementwise_kernel_helperILb0EZZZNS0_12_GLOBAL__N_130modified_bessel_i1_kernel_cudaERNS_18TensorIteratorBaseEENKUlvE_clEvENKUlvE_clEvEUldE_NS0_6memory8policies10vectorizedILi4ESt5arrayIPcLm2EELi4EEEEEvT0_T1_@rel32@hi+12
	v_mov_b32_e32 v0, s16
	v_mov_b32_e32 v1, s17
	;; [unrolled: 1-line block ×4, first 2 shown]
	s_swappc_b64 s[30:31], s[4:5]
	s_cbranch_execnz .LBB2_2
.LBB2_4:
	s_getpc_b64 s[4:5]
	s_add_u32 s4, s4, _ZN2at6native25elementwise_kernel_helperILb0EZZZNS0_12_GLOBAL__N_130modified_bessel_i1_kernel_cudaERNS_18TensorIteratorBaseEENKUlvE_clEvENKUlvE_clEvEUldE_NS0_6memory8policies11unroll_baseILi256ESt5arrayIPcLm2EE23TrivialOffsetCalculatorILi1EjESF_NS8_15LoadWithoutCastENS8_16StoreWithoutCastELi4ELi1EEEEEvT0_T1_@rel32@lo+4
	s_addc_u32 s5, s5, _ZN2at6native25elementwise_kernel_helperILb0EZZZNS0_12_GLOBAL__N_130modified_bessel_i1_kernel_cudaERNS_18TensorIteratorBaseEENKUlvE_clEvENKUlvE_clEvEUldE_NS0_6memory8policies11unroll_baseILi256ESt5arrayIPcLm2EE23TrivialOffsetCalculatorILi1EjESF_NS8_15LoadWithoutCastENS8_16StoreWithoutCastELi4ELi1EEEEEvT0_T1_@rel32@hi+12
	v_mov_b32_e32 v0, s16
	v_mov_b32_e32 v1, s17
	;; [unrolled: 1-line block ×5, first 2 shown]
	s_swappc_b64 s[30:31], s[4:5]
	s_endpgm
	.section	.rodata,"a",@progbits
	.p2align	6, 0x0
	.amdhsa_kernel _ZN2at6native29vectorized_elementwise_kernelILi16EZZZNS0_12_GLOBAL__N_130modified_bessel_i1_kernel_cudaERNS_18TensorIteratorBaseEENKUlvE_clEvENKUlvE_clEvEUldE_St5arrayIPcLm2EEEEviT0_T1_
		.amdhsa_group_segment_fixed_size 0
		.amdhsa_private_segment_fixed_size 0
		.amdhsa_kernarg_size 24
		.amdhsa_user_sgpr_count 6
		.amdhsa_user_sgpr_private_segment_buffer 1
		.amdhsa_user_sgpr_dispatch_ptr 0
		.amdhsa_user_sgpr_queue_ptr 0
		.amdhsa_user_sgpr_kernarg_segment_ptr 1
		.amdhsa_user_sgpr_dispatch_id 0
		.amdhsa_user_sgpr_flat_scratch_init 0
		.amdhsa_user_sgpr_private_segment_size 0
		.amdhsa_uses_dynamic_stack 0
		.amdhsa_system_sgpr_private_segment_wavefront_offset 0
		.amdhsa_system_sgpr_workgroup_id_x 1
		.amdhsa_system_sgpr_workgroup_id_y 0
		.amdhsa_system_sgpr_workgroup_id_z 0
		.amdhsa_system_sgpr_workgroup_info 0
		.amdhsa_system_vgpr_workitem_id 0
		.amdhsa_next_free_vgpr 32
		.amdhsa_next_free_sgpr 33
		.amdhsa_reserve_vcc 1
		.amdhsa_reserve_flat_scratch 0
		.amdhsa_float_round_mode_32 0
		.amdhsa_float_round_mode_16_64 0
		.amdhsa_float_denorm_mode_32 3
		.amdhsa_float_denorm_mode_16_64 3
		.amdhsa_dx10_clamp 1
		.amdhsa_ieee_mode 1
		.amdhsa_fp16_overflow 0
		.amdhsa_exception_fp_ieee_invalid_op 0
		.amdhsa_exception_fp_denorm_src 0
		.amdhsa_exception_fp_ieee_div_zero 0
		.amdhsa_exception_fp_ieee_overflow 0
		.amdhsa_exception_fp_ieee_underflow 0
		.amdhsa_exception_fp_ieee_inexact 0
		.amdhsa_exception_int_div_zero 0
	.end_amdhsa_kernel
	.section	.text._ZN2at6native29vectorized_elementwise_kernelILi16EZZZNS0_12_GLOBAL__N_130modified_bessel_i1_kernel_cudaERNS_18TensorIteratorBaseEENKUlvE_clEvENKUlvE_clEvEUldE_St5arrayIPcLm2EEEEviT0_T1_,"axG",@progbits,_ZN2at6native29vectorized_elementwise_kernelILi16EZZZNS0_12_GLOBAL__N_130modified_bessel_i1_kernel_cudaERNS_18TensorIteratorBaseEENKUlvE_clEvENKUlvE_clEvEUldE_St5arrayIPcLm2EEEEviT0_T1_,comdat
.Lfunc_end2:
	.size	_ZN2at6native29vectorized_elementwise_kernelILi16EZZZNS0_12_GLOBAL__N_130modified_bessel_i1_kernel_cudaERNS_18TensorIteratorBaseEENKUlvE_clEvENKUlvE_clEvEUldE_St5arrayIPcLm2EEEEviT0_T1_, .Lfunc_end2-_ZN2at6native29vectorized_elementwise_kernelILi16EZZZNS0_12_GLOBAL__N_130modified_bessel_i1_kernel_cudaERNS_18TensorIteratorBaseEENKUlvE_clEvENKUlvE_clEvEUldE_St5arrayIPcLm2EEEEviT0_T1_
                                        ; -- End function
	.set _ZN2at6native29vectorized_elementwise_kernelILi16EZZZNS0_12_GLOBAL__N_130modified_bessel_i1_kernel_cudaERNS_18TensorIteratorBaseEENKUlvE_clEvENKUlvE_clEvEUldE_St5arrayIPcLm2EEEEviT0_T1_.num_vgpr, max(32, .L_ZN2at6native25elementwise_kernel_helperILb0EZZZNS0_12_GLOBAL__N_130modified_bessel_i1_kernel_cudaERNS_18TensorIteratorBaseEENKUlvE_clEvENKUlvE_clEvEUldE_NS0_6memory8policies10vectorizedILi4ESt5arrayIPcLm2EELi4EEEEEvT0_T1_.num_vgpr, .L_ZN2at6native25elementwise_kernel_helperILb0EZZZNS0_12_GLOBAL__N_130modified_bessel_i1_kernel_cudaERNS_18TensorIteratorBaseEENKUlvE_clEvENKUlvE_clEvEUldE_NS0_6memory8policies11unroll_baseILi256ESt5arrayIPcLm2EE23TrivialOffsetCalculatorILi1EjESF_NS8_15LoadWithoutCastENS8_16StoreWithoutCastELi4ELi1EEEEEvT0_T1_.num_vgpr)
	.set _ZN2at6native29vectorized_elementwise_kernelILi16EZZZNS0_12_GLOBAL__N_130modified_bessel_i1_kernel_cudaERNS_18TensorIteratorBaseEENKUlvE_clEvENKUlvE_clEvEUldE_St5arrayIPcLm2EEEEviT0_T1_.num_agpr, max(0, .L_ZN2at6native25elementwise_kernel_helperILb0EZZZNS0_12_GLOBAL__N_130modified_bessel_i1_kernel_cudaERNS_18TensorIteratorBaseEENKUlvE_clEvENKUlvE_clEvEUldE_NS0_6memory8policies10vectorizedILi4ESt5arrayIPcLm2EELi4EEEEEvT0_T1_.num_agpr, .L_ZN2at6native25elementwise_kernel_helperILb0EZZZNS0_12_GLOBAL__N_130modified_bessel_i1_kernel_cudaERNS_18TensorIteratorBaseEENKUlvE_clEvENKUlvE_clEvEUldE_NS0_6memory8policies11unroll_baseILi256ESt5arrayIPcLm2EE23TrivialOffsetCalculatorILi1EjESF_NS8_15LoadWithoutCastENS8_16StoreWithoutCastELi4ELi1EEEEEvT0_T1_.num_agpr)
	.set _ZN2at6native29vectorized_elementwise_kernelILi16EZZZNS0_12_GLOBAL__N_130modified_bessel_i1_kernel_cudaERNS_18TensorIteratorBaseEENKUlvE_clEvENKUlvE_clEvEUldE_St5arrayIPcLm2EEEEviT0_T1_.numbered_sgpr, max(33, .L_ZN2at6native25elementwise_kernel_helperILb0EZZZNS0_12_GLOBAL__N_130modified_bessel_i1_kernel_cudaERNS_18TensorIteratorBaseEENKUlvE_clEvENKUlvE_clEvEUldE_NS0_6memory8policies10vectorizedILi4ESt5arrayIPcLm2EELi4EEEEEvT0_T1_.numbered_sgpr, .L_ZN2at6native25elementwise_kernel_helperILb0EZZZNS0_12_GLOBAL__N_130modified_bessel_i1_kernel_cudaERNS_18TensorIteratorBaseEENKUlvE_clEvENKUlvE_clEvEUldE_NS0_6memory8policies11unroll_baseILi256ESt5arrayIPcLm2EE23TrivialOffsetCalculatorILi1EjESF_NS8_15LoadWithoutCastENS8_16StoreWithoutCastELi4ELi1EEEEEvT0_T1_.numbered_sgpr)
	.set _ZN2at6native29vectorized_elementwise_kernelILi16EZZZNS0_12_GLOBAL__N_130modified_bessel_i1_kernel_cudaERNS_18TensorIteratorBaseEENKUlvE_clEvENKUlvE_clEvEUldE_St5arrayIPcLm2EEEEviT0_T1_.num_named_barrier, max(0, .L_ZN2at6native25elementwise_kernel_helperILb0EZZZNS0_12_GLOBAL__N_130modified_bessel_i1_kernel_cudaERNS_18TensorIteratorBaseEENKUlvE_clEvENKUlvE_clEvEUldE_NS0_6memory8policies10vectorizedILi4ESt5arrayIPcLm2EELi4EEEEEvT0_T1_.num_named_barrier, .L_ZN2at6native25elementwise_kernel_helperILb0EZZZNS0_12_GLOBAL__N_130modified_bessel_i1_kernel_cudaERNS_18TensorIteratorBaseEENKUlvE_clEvENKUlvE_clEvEUldE_NS0_6memory8policies11unroll_baseILi256ESt5arrayIPcLm2EE23TrivialOffsetCalculatorILi1EjESF_NS8_15LoadWithoutCastENS8_16StoreWithoutCastELi4ELi1EEEEEvT0_T1_.num_named_barrier)
	.set _ZN2at6native29vectorized_elementwise_kernelILi16EZZZNS0_12_GLOBAL__N_130modified_bessel_i1_kernel_cudaERNS_18TensorIteratorBaseEENKUlvE_clEvENKUlvE_clEvEUldE_St5arrayIPcLm2EEEEviT0_T1_.private_seg_size, 0+max(.L_ZN2at6native25elementwise_kernel_helperILb0EZZZNS0_12_GLOBAL__N_130modified_bessel_i1_kernel_cudaERNS_18TensorIteratorBaseEENKUlvE_clEvENKUlvE_clEvEUldE_NS0_6memory8policies10vectorizedILi4ESt5arrayIPcLm2EELi4EEEEEvT0_T1_.private_seg_size, .L_ZN2at6native25elementwise_kernel_helperILb0EZZZNS0_12_GLOBAL__N_130modified_bessel_i1_kernel_cudaERNS_18TensorIteratorBaseEENKUlvE_clEvENKUlvE_clEvEUldE_NS0_6memory8policies11unroll_baseILi256ESt5arrayIPcLm2EE23TrivialOffsetCalculatorILi1EjESF_NS8_15LoadWithoutCastENS8_16StoreWithoutCastELi4ELi1EEEEEvT0_T1_.private_seg_size)
	.set _ZN2at6native29vectorized_elementwise_kernelILi16EZZZNS0_12_GLOBAL__N_130modified_bessel_i1_kernel_cudaERNS_18TensorIteratorBaseEENKUlvE_clEvENKUlvE_clEvEUldE_St5arrayIPcLm2EEEEviT0_T1_.uses_vcc, or(1, .L_ZN2at6native25elementwise_kernel_helperILb0EZZZNS0_12_GLOBAL__N_130modified_bessel_i1_kernel_cudaERNS_18TensorIteratorBaseEENKUlvE_clEvENKUlvE_clEvEUldE_NS0_6memory8policies10vectorizedILi4ESt5arrayIPcLm2EELi4EEEEEvT0_T1_.uses_vcc, .L_ZN2at6native25elementwise_kernel_helperILb0EZZZNS0_12_GLOBAL__N_130modified_bessel_i1_kernel_cudaERNS_18TensorIteratorBaseEENKUlvE_clEvENKUlvE_clEvEUldE_NS0_6memory8policies11unroll_baseILi256ESt5arrayIPcLm2EE23TrivialOffsetCalculatorILi1EjESF_NS8_15LoadWithoutCastENS8_16StoreWithoutCastELi4ELi1EEEEEvT0_T1_.uses_vcc)
	.set _ZN2at6native29vectorized_elementwise_kernelILi16EZZZNS0_12_GLOBAL__N_130modified_bessel_i1_kernel_cudaERNS_18TensorIteratorBaseEENKUlvE_clEvENKUlvE_clEvEUldE_St5arrayIPcLm2EEEEviT0_T1_.uses_flat_scratch, or(0, .L_ZN2at6native25elementwise_kernel_helperILb0EZZZNS0_12_GLOBAL__N_130modified_bessel_i1_kernel_cudaERNS_18TensorIteratorBaseEENKUlvE_clEvENKUlvE_clEvEUldE_NS0_6memory8policies10vectorizedILi4ESt5arrayIPcLm2EELi4EEEEEvT0_T1_.uses_flat_scratch, .L_ZN2at6native25elementwise_kernel_helperILb0EZZZNS0_12_GLOBAL__N_130modified_bessel_i1_kernel_cudaERNS_18TensorIteratorBaseEENKUlvE_clEvENKUlvE_clEvEUldE_NS0_6memory8policies11unroll_baseILi256ESt5arrayIPcLm2EE23TrivialOffsetCalculatorILi1EjESF_NS8_15LoadWithoutCastENS8_16StoreWithoutCastELi4ELi1EEEEEvT0_T1_.uses_flat_scratch)
	.set _ZN2at6native29vectorized_elementwise_kernelILi16EZZZNS0_12_GLOBAL__N_130modified_bessel_i1_kernel_cudaERNS_18TensorIteratorBaseEENKUlvE_clEvENKUlvE_clEvEUldE_St5arrayIPcLm2EEEEviT0_T1_.has_dyn_sized_stack, or(0, .L_ZN2at6native25elementwise_kernel_helperILb0EZZZNS0_12_GLOBAL__N_130modified_bessel_i1_kernel_cudaERNS_18TensorIteratorBaseEENKUlvE_clEvENKUlvE_clEvEUldE_NS0_6memory8policies10vectorizedILi4ESt5arrayIPcLm2EELi4EEEEEvT0_T1_.has_dyn_sized_stack, .L_ZN2at6native25elementwise_kernel_helperILb0EZZZNS0_12_GLOBAL__N_130modified_bessel_i1_kernel_cudaERNS_18TensorIteratorBaseEENKUlvE_clEvENKUlvE_clEvEUldE_NS0_6memory8policies11unroll_baseILi256ESt5arrayIPcLm2EE23TrivialOffsetCalculatorILi1EjESF_NS8_15LoadWithoutCastENS8_16StoreWithoutCastELi4ELi1EEEEEvT0_T1_.has_dyn_sized_stack)
	.set _ZN2at6native29vectorized_elementwise_kernelILi16EZZZNS0_12_GLOBAL__N_130modified_bessel_i1_kernel_cudaERNS_18TensorIteratorBaseEENKUlvE_clEvENKUlvE_clEvEUldE_St5arrayIPcLm2EEEEviT0_T1_.has_recursion, or(0, .L_ZN2at6native25elementwise_kernel_helperILb0EZZZNS0_12_GLOBAL__N_130modified_bessel_i1_kernel_cudaERNS_18TensorIteratorBaseEENKUlvE_clEvENKUlvE_clEvEUldE_NS0_6memory8policies10vectorizedILi4ESt5arrayIPcLm2EELi4EEEEEvT0_T1_.has_recursion, .L_ZN2at6native25elementwise_kernel_helperILb0EZZZNS0_12_GLOBAL__N_130modified_bessel_i1_kernel_cudaERNS_18TensorIteratorBaseEENKUlvE_clEvENKUlvE_clEvEUldE_NS0_6memory8policies11unroll_baseILi256ESt5arrayIPcLm2EE23TrivialOffsetCalculatorILi1EjESF_NS8_15LoadWithoutCastENS8_16StoreWithoutCastELi4ELi1EEEEEvT0_T1_.has_recursion)
	.set _ZN2at6native29vectorized_elementwise_kernelILi16EZZZNS0_12_GLOBAL__N_130modified_bessel_i1_kernel_cudaERNS_18TensorIteratorBaseEENKUlvE_clEvENKUlvE_clEvEUldE_St5arrayIPcLm2EEEEviT0_T1_.has_indirect_call, or(0, .L_ZN2at6native25elementwise_kernel_helperILb0EZZZNS0_12_GLOBAL__N_130modified_bessel_i1_kernel_cudaERNS_18TensorIteratorBaseEENKUlvE_clEvENKUlvE_clEvEUldE_NS0_6memory8policies10vectorizedILi4ESt5arrayIPcLm2EELi4EEEEEvT0_T1_.has_indirect_call, .L_ZN2at6native25elementwise_kernel_helperILb0EZZZNS0_12_GLOBAL__N_130modified_bessel_i1_kernel_cudaERNS_18TensorIteratorBaseEENKUlvE_clEvENKUlvE_clEvEUldE_NS0_6memory8policies11unroll_baseILi256ESt5arrayIPcLm2EE23TrivialOffsetCalculatorILi1EjESF_NS8_15LoadWithoutCastENS8_16StoreWithoutCastELi4ELi1EEEEEvT0_T1_.has_indirect_call)
	.section	.AMDGPU.csdata,"",@progbits
; Kernel info:
; codeLenInByte = 164
; TotalNumSgprs: 37
; NumVgprs: 32
; ScratchSize: 0
; MemoryBound: 0
; FloatMode: 240
; IeeeMode: 1
; LDSByteSize: 0 bytes/workgroup (compile time only)
; SGPRBlocks: 4
; VGPRBlocks: 7
; NumSGPRsForWavesPerEU: 37
; NumVGPRsForWavesPerEU: 32
; Occupancy: 8
; WaveLimiterHint : 0
; COMPUTE_PGM_RSRC2:SCRATCH_EN: 0
; COMPUTE_PGM_RSRC2:USER_SGPR: 6
; COMPUTE_PGM_RSRC2:TRAP_HANDLER: 0
; COMPUTE_PGM_RSRC2:TGID_X_EN: 1
; COMPUTE_PGM_RSRC2:TGID_Y_EN: 0
; COMPUTE_PGM_RSRC2:TGID_Z_EN: 0
; COMPUTE_PGM_RSRC2:TIDIG_COMP_CNT: 0
	.section	.text._ZN2at6native29vectorized_elementwise_kernelILi8EZZZNS0_12_GLOBAL__N_130modified_bessel_i1_kernel_cudaERNS_18TensorIteratorBaseEENKUlvE_clEvENKUlvE_clEvEUldE_St5arrayIPcLm2EEEEviT0_T1_,"axG",@progbits,_ZN2at6native29vectorized_elementwise_kernelILi8EZZZNS0_12_GLOBAL__N_130modified_bessel_i1_kernel_cudaERNS_18TensorIteratorBaseEENKUlvE_clEvENKUlvE_clEvEUldE_St5arrayIPcLm2EEEEviT0_T1_,comdat
	.globl	_ZN2at6native29vectorized_elementwise_kernelILi8EZZZNS0_12_GLOBAL__N_130modified_bessel_i1_kernel_cudaERNS_18TensorIteratorBaseEENKUlvE_clEvENKUlvE_clEvEUldE_St5arrayIPcLm2EEEEviT0_T1_ ; -- Begin function _ZN2at6native29vectorized_elementwise_kernelILi8EZZZNS0_12_GLOBAL__N_130modified_bessel_i1_kernel_cudaERNS_18TensorIteratorBaseEENKUlvE_clEvENKUlvE_clEvEUldE_St5arrayIPcLm2EEEEviT0_T1_
	.p2align	8
	.type	_ZN2at6native29vectorized_elementwise_kernelILi8EZZZNS0_12_GLOBAL__N_130modified_bessel_i1_kernel_cudaERNS_18TensorIteratorBaseEENKUlvE_clEvENKUlvE_clEvEUldE_St5arrayIPcLm2EEEEviT0_T1_,@function
_ZN2at6native29vectorized_elementwise_kernelILi8EZZZNS0_12_GLOBAL__N_130modified_bessel_i1_kernel_cudaERNS_18TensorIteratorBaseEENKUlvE_clEvENKUlvE_clEvEUldE_St5arrayIPcLm2EEEEviT0_T1_: ; @_ZN2at6native29vectorized_elementwise_kernelILi8EZZZNS0_12_GLOBAL__N_130modified_bessel_i1_kernel_cudaERNS_18TensorIteratorBaseEENKUlvE_clEvENKUlvE_clEvEUldE_St5arrayIPcLm2EEEEviT0_T1_
; %bb.0:
	s_mov_b32 s12, s6
	s_load_dword s6, s[4:5], 0x0
	s_load_dwordx4 s[16:19], s[4:5], 0x8
	s_add_u32 s0, s0, s7
	s_addc_u32 s1, s1, 0
	s_lshl_b32 s4, s12, 10
	s_waitcnt lgkmcnt(0)
	s_sub_i32 s13, s6, s4
	v_mov_b32_e32 v31, v0
	s_cmpk_gt_i32 s13, 0x3ff
	s_mov_b64 s[4:5], -1
	s_mov_b32 s32, 0
	s_cbranch_scc1 .LBB3_3
; %bb.1:
	s_andn2_b64 vcc, exec, s[4:5]
	s_cbranch_vccz .LBB3_4
.LBB3_2:
	s_endpgm
.LBB3_3:
	s_getpc_b64 s[4:5]
	s_add_u32 s4, s4, _ZN2at6native25elementwise_kernel_helperILb0EZZZNS0_12_GLOBAL__N_130modified_bessel_i1_kernel_cudaERNS_18TensorIteratorBaseEENKUlvE_clEvENKUlvE_clEvEUldE_NS0_6memory8policies10vectorizedILi4ESt5arrayIPcLm2EELi4EEEEEvT0_T1_@rel32@lo+4
	s_addc_u32 s5, s5, _ZN2at6native25elementwise_kernel_helperILb0EZZZNS0_12_GLOBAL__N_130modified_bessel_i1_kernel_cudaERNS_18TensorIteratorBaseEENKUlvE_clEvENKUlvE_clEvEUldE_NS0_6memory8policies10vectorizedILi4ESt5arrayIPcLm2EELi4EEEEEvT0_T1_@rel32@hi+12
	v_mov_b32_e32 v0, s16
	v_mov_b32_e32 v1, s17
	;; [unrolled: 1-line block ×4, first 2 shown]
	s_swappc_b64 s[30:31], s[4:5]
	s_cbranch_execnz .LBB3_2
.LBB3_4:
	s_getpc_b64 s[4:5]
	s_add_u32 s4, s4, _ZN2at6native25elementwise_kernel_helperILb0EZZZNS0_12_GLOBAL__N_130modified_bessel_i1_kernel_cudaERNS_18TensorIteratorBaseEENKUlvE_clEvENKUlvE_clEvEUldE_NS0_6memory8policies11unroll_baseILi256ESt5arrayIPcLm2EE23TrivialOffsetCalculatorILi1EjESF_NS8_15LoadWithoutCastENS8_16StoreWithoutCastELi4ELi1EEEEEvT0_T1_@rel32@lo+4
	s_addc_u32 s5, s5, _ZN2at6native25elementwise_kernel_helperILb0EZZZNS0_12_GLOBAL__N_130modified_bessel_i1_kernel_cudaERNS_18TensorIteratorBaseEENKUlvE_clEvENKUlvE_clEvEUldE_NS0_6memory8policies11unroll_baseILi256ESt5arrayIPcLm2EE23TrivialOffsetCalculatorILi1EjESF_NS8_15LoadWithoutCastENS8_16StoreWithoutCastELi4ELi1EEEEEvT0_T1_@rel32@hi+12
	v_mov_b32_e32 v0, s16
	v_mov_b32_e32 v1, s17
	v_mov_b32_e32 v2, s18
	v_mov_b32_e32 v3, s19
	v_mov_b32_e32 v4, s13
	s_swappc_b64 s[30:31], s[4:5]
	s_endpgm
	.section	.rodata,"a",@progbits
	.p2align	6, 0x0
	.amdhsa_kernel _ZN2at6native29vectorized_elementwise_kernelILi8EZZZNS0_12_GLOBAL__N_130modified_bessel_i1_kernel_cudaERNS_18TensorIteratorBaseEENKUlvE_clEvENKUlvE_clEvEUldE_St5arrayIPcLm2EEEEviT0_T1_
		.amdhsa_group_segment_fixed_size 0
		.amdhsa_private_segment_fixed_size 0
		.amdhsa_kernarg_size 24
		.amdhsa_user_sgpr_count 6
		.amdhsa_user_sgpr_private_segment_buffer 1
		.amdhsa_user_sgpr_dispatch_ptr 0
		.amdhsa_user_sgpr_queue_ptr 0
		.amdhsa_user_sgpr_kernarg_segment_ptr 1
		.amdhsa_user_sgpr_dispatch_id 0
		.amdhsa_user_sgpr_flat_scratch_init 0
		.amdhsa_user_sgpr_private_segment_size 0
		.amdhsa_uses_dynamic_stack 0
		.amdhsa_system_sgpr_private_segment_wavefront_offset 0
		.amdhsa_system_sgpr_workgroup_id_x 1
		.amdhsa_system_sgpr_workgroup_id_y 0
		.amdhsa_system_sgpr_workgroup_id_z 0
		.amdhsa_system_sgpr_workgroup_info 0
		.amdhsa_system_vgpr_workitem_id 0
		.amdhsa_next_free_vgpr 32
		.amdhsa_next_free_sgpr 33
		.amdhsa_reserve_vcc 1
		.amdhsa_reserve_flat_scratch 0
		.amdhsa_float_round_mode_32 0
		.amdhsa_float_round_mode_16_64 0
		.amdhsa_float_denorm_mode_32 3
		.amdhsa_float_denorm_mode_16_64 3
		.amdhsa_dx10_clamp 1
		.amdhsa_ieee_mode 1
		.amdhsa_fp16_overflow 0
		.amdhsa_exception_fp_ieee_invalid_op 0
		.amdhsa_exception_fp_denorm_src 0
		.amdhsa_exception_fp_ieee_div_zero 0
		.amdhsa_exception_fp_ieee_overflow 0
		.amdhsa_exception_fp_ieee_underflow 0
		.amdhsa_exception_fp_ieee_inexact 0
		.amdhsa_exception_int_div_zero 0
	.end_amdhsa_kernel
	.section	.text._ZN2at6native29vectorized_elementwise_kernelILi8EZZZNS0_12_GLOBAL__N_130modified_bessel_i1_kernel_cudaERNS_18TensorIteratorBaseEENKUlvE_clEvENKUlvE_clEvEUldE_St5arrayIPcLm2EEEEviT0_T1_,"axG",@progbits,_ZN2at6native29vectorized_elementwise_kernelILi8EZZZNS0_12_GLOBAL__N_130modified_bessel_i1_kernel_cudaERNS_18TensorIteratorBaseEENKUlvE_clEvENKUlvE_clEvEUldE_St5arrayIPcLm2EEEEviT0_T1_,comdat
.Lfunc_end3:
	.size	_ZN2at6native29vectorized_elementwise_kernelILi8EZZZNS0_12_GLOBAL__N_130modified_bessel_i1_kernel_cudaERNS_18TensorIteratorBaseEENKUlvE_clEvENKUlvE_clEvEUldE_St5arrayIPcLm2EEEEviT0_T1_, .Lfunc_end3-_ZN2at6native29vectorized_elementwise_kernelILi8EZZZNS0_12_GLOBAL__N_130modified_bessel_i1_kernel_cudaERNS_18TensorIteratorBaseEENKUlvE_clEvENKUlvE_clEvEUldE_St5arrayIPcLm2EEEEviT0_T1_
                                        ; -- End function
	.set _ZN2at6native29vectorized_elementwise_kernelILi8EZZZNS0_12_GLOBAL__N_130modified_bessel_i1_kernel_cudaERNS_18TensorIteratorBaseEENKUlvE_clEvENKUlvE_clEvEUldE_St5arrayIPcLm2EEEEviT0_T1_.num_vgpr, max(32, .L_ZN2at6native25elementwise_kernel_helperILb0EZZZNS0_12_GLOBAL__N_130modified_bessel_i1_kernel_cudaERNS_18TensorIteratorBaseEENKUlvE_clEvENKUlvE_clEvEUldE_NS0_6memory8policies10vectorizedILi4ESt5arrayIPcLm2EELi4EEEEEvT0_T1_.num_vgpr, .L_ZN2at6native25elementwise_kernel_helperILb0EZZZNS0_12_GLOBAL__N_130modified_bessel_i1_kernel_cudaERNS_18TensorIteratorBaseEENKUlvE_clEvENKUlvE_clEvEUldE_NS0_6memory8policies11unroll_baseILi256ESt5arrayIPcLm2EE23TrivialOffsetCalculatorILi1EjESF_NS8_15LoadWithoutCastENS8_16StoreWithoutCastELi4ELi1EEEEEvT0_T1_.num_vgpr)
	.set _ZN2at6native29vectorized_elementwise_kernelILi8EZZZNS0_12_GLOBAL__N_130modified_bessel_i1_kernel_cudaERNS_18TensorIteratorBaseEENKUlvE_clEvENKUlvE_clEvEUldE_St5arrayIPcLm2EEEEviT0_T1_.num_agpr, max(0, .L_ZN2at6native25elementwise_kernel_helperILb0EZZZNS0_12_GLOBAL__N_130modified_bessel_i1_kernel_cudaERNS_18TensorIteratorBaseEENKUlvE_clEvENKUlvE_clEvEUldE_NS0_6memory8policies10vectorizedILi4ESt5arrayIPcLm2EELi4EEEEEvT0_T1_.num_agpr, .L_ZN2at6native25elementwise_kernel_helperILb0EZZZNS0_12_GLOBAL__N_130modified_bessel_i1_kernel_cudaERNS_18TensorIteratorBaseEENKUlvE_clEvENKUlvE_clEvEUldE_NS0_6memory8policies11unroll_baseILi256ESt5arrayIPcLm2EE23TrivialOffsetCalculatorILi1EjESF_NS8_15LoadWithoutCastENS8_16StoreWithoutCastELi4ELi1EEEEEvT0_T1_.num_agpr)
	.set _ZN2at6native29vectorized_elementwise_kernelILi8EZZZNS0_12_GLOBAL__N_130modified_bessel_i1_kernel_cudaERNS_18TensorIteratorBaseEENKUlvE_clEvENKUlvE_clEvEUldE_St5arrayIPcLm2EEEEviT0_T1_.numbered_sgpr, max(33, .L_ZN2at6native25elementwise_kernel_helperILb0EZZZNS0_12_GLOBAL__N_130modified_bessel_i1_kernel_cudaERNS_18TensorIteratorBaseEENKUlvE_clEvENKUlvE_clEvEUldE_NS0_6memory8policies10vectorizedILi4ESt5arrayIPcLm2EELi4EEEEEvT0_T1_.numbered_sgpr, .L_ZN2at6native25elementwise_kernel_helperILb0EZZZNS0_12_GLOBAL__N_130modified_bessel_i1_kernel_cudaERNS_18TensorIteratorBaseEENKUlvE_clEvENKUlvE_clEvEUldE_NS0_6memory8policies11unroll_baseILi256ESt5arrayIPcLm2EE23TrivialOffsetCalculatorILi1EjESF_NS8_15LoadWithoutCastENS8_16StoreWithoutCastELi4ELi1EEEEEvT0_T1_.numbered_sgpr)
	.set _ZN2at6native29vectorized_elementwise_kernelILi8EZZZNS0_12_GLOBAL__N_130modified_bessel_i1_kernel_cudaERNS_18TensorIteratorBaseEENKUlvE_clEvENKUlvE_clEvEUldE_St5arrayIPcLm2EEEEviT0_T1_.num_named_barrier, max(0, .L_ZN2at6native25elementwise_kernel_helperILb0EZZZNS0_12_GLOBAL__N_130modified_bessel_i1_kernel_cudaERNS_18TensorIteratorBaseEENKUlvE_clEvENKUlvE_clEvEUldE_NS0_6memory8policies10vectorizedILi4ESt5arrayIPcLm2EELi4EEEEEvT0_T1_.num_named_barrier, .L_ZN2at6native25elementwise_kernel_helperILb0EZZZNS0_12_GLOBAL__N_130modified_bessel_i1_kernel_cudaERNS_18TensorIteratorBaseEENKUlvE_clEvENKUlvE_clEvEUldE_NS0_6memory8policies11unroll_baseILi256ESt5arrayIPcLm2EE23TrivialOffsetCalculatorILi1EjESF_NS8_15LoadWithoutCastENS8_16StoreWithoutCastELi4ELi1EEEEEvT0_T1_.num_named_barrier)
	.set _ZN2at6native29vectorized_elementwise_kernelILi8EZZZNS0_12_GLOBAL__N_130modified_bessel_i1_kernel_cudaERNS_18TensorIteratorBaseEENKUlvE_clEvENKUlvE_clEvEUldE_St5arrayIPcLm2EEEEviT0_T1_.private_seg_size, 0+max(.L_ZN2at6native25elementwise_kernel_helperILb0EZZZNS0_12_GLOBAL__N_130modified_bessel_i1_kernel_cudaERNS_18TensorIteratorBaseEENKUlvE_clEvENKUlvE_clEvEUldE_NS0_6memory8policies10vectorizedILi4ESt5arrayIPcLm2EELi4EEEEEvT0_T1_.private_seg_size, .L_ZN2at6native25elementwise_kernel_helperILb0EZZZNS0_12_GLOBAL__N_130modified_bessel_i1_kernel_cudaERNS_18TensorIteratorBaseEENKUlvE_clEvENKUlvE_clEvEUldE_NS0_6memory8policies11unroll_baseILi256ESt5arrayIPcLm2EE23TrivialOffsetCalculatorILi1EjESF_NS8_15LoadWithoutCastENS8_16StoreWithoutCastELi4ELi1EEEEEvT0_T1_.private_seg_size)
	.set _ZN2at6native29vectorized_elementwise_kernelILi8EZZZNS0_12_GLOBAL__N_130modified_bessel_i1_kernel_cudaERNS_18TensorIteratorBaseEENKUlvE_clEvENKUlvE_clEvEUldE_St5arrayIPcLm2EEEEviT0_T1_.uses_vcc, or(1, .L_ZN2at6native25elementwise_kernel_helperILb0EZZZNS0_12_GLOBAL__N_130modified_bessel_i1_kernel_cudaERNS_18TensorIteratorBaseEENKUlvE_clEvENKUlvE_clEvEUldE_NS0_6memory8policies10vectorizedILi4ESt5arrayIPcLm2EELi4EEEEEvT0_T1_.uses_vcc, .L_ZN2at6native25elementwise_kernel_helperILb0EZZZNS0_12_GLOBAL__N_130modified_bessel_i1_kernel_cudaERNS_18TensorIteratorBaseEENKUlvE_clEvENKUlvE_clEvEUldE_NS0_6memory8policies11unroll_baseILi256ESt5arrayIPcLm2EE23TrivialOffsetCalculatorILi1EjESF_NS8_15LoadWithoutCastENS8_16StoreWithoutCastELi4ELi1EEEEEvT0_T1_.uses_vcc)
	.set _ZN2at6native29vectorized_elementwise_kernelILi8EZZZNS0_12_GLOBAL__N_130modified_bessel_i1_kernel_cudaERNS_18TensorIteratorBaseEENKUlvE_clEvENKUlvE_clEvEUldE_St5arrayIPcLm2EEEEviT0_T1_.uses_flat_scratch, or(0, .L_ZN2at6native25elementwise_kernel_helperILb0EZZZNS0_12_GLOBAL__N_130modified_bessel_i1_kernel_cudaERNS_18TensorIteratorBaseEENKUlvE_clEvENKUlvE_clEvEUldE_NS0_6memory8policies10vectorizedILi4ESt5arrayIPcLm2EELi4EEEEEvT0_T1_.uses_flat_scratch, .L_ZN2at6native25elementwise_kernel_helperILb0EZZZNS0_12_GLOBAL__N_130modified_bessel_i1_kernel_cudaERNS_18TensorIteratorBaseEENKUlvE_clEvENKUlvE_clEvEUldE_NS0_6memory8policies11unroll_baseILi256ESt5arrayIPcLm2EE23TrivialOffsetCalculatorILi1EjESF_NS8_15LoadWithoutCastENS8_16StoreWithoutCastELi4ELi1EEEEEvT0_T1_.uses_flat_scratch)
	.set _ZN2at6native29vectorized_elementwise_kernelILi8EZZZNS0_12_GLOBAL__N_130modified_bessel_i1_kernel_cudaERNS_18TensorIteratorBaseEENKUlvE_clEvENKUlvE_clEvEUldE_St5arrayIPcLm2EEEEviT0_T1_.has_dyn_sized_stack, or(0, .L_ZN2at6native25elementwise_kernel_helperILb0EZZZNS0_12_GLOBAL__N_130modified_bessel_i1_kernel_cudaERNS_18TensorIteratorBaseEENKUlvE_clEvENKUlvE_clEvEUldE_NS0_6memory8policies10vectorizedILi4ESt5arrayIPcLm2EELi4EEEEEvT0_T1_.has_dyn_sized_stack, .L_ZN2at6native25elementwise_kernel_helperILb0EZZZNS0_12_GLOBAL__N_130modified_bessel_i1_kernel_cudaERNS_18TensorIteratorBaseEENKUlvE_clEvENKUlvE_clEvEUldE_NS0_6memory8policies11unroll_baseILi256ESt5arrayIPcLm2EE23TrivialOffsetCalculatorILi1EjESF_NS8_15LoadWithoutCastENS8_16StoreWithoutCastELi4ELi1EEEEEvT0_T1_.has_dyn_sized_stack)
	.set _ZN2at6native29vectorized_elementwise_kernelILi8EZZZNS0_12_GLOBAL__N_130modified_bessel_i1_kernel_cudaERNS_18TensorIteratorBaseEENKUlvE_clEvENKUlvE_clEvEUldE_St5arrayIPcLm2EEEEviT0_T1_.has_recursion, or(0, .L_ZN2at6native25elementwise_kernel_helperILb0EZZZNS0_12_GLOBAL__N_130modified_bessel_i1_kernel_cudaERNS_18TensorIteratorBaseEENKUlvE_clEvENKUlvE_clEvEUldE_NS0_6memory8policies10vectorizedILi4ESt5arrayIPcLm2EELi4EEEEEvT0_T1_.has_recursion, .L_ZN2at6native25elementwise_kernel_helperILb0EZZZNS0_12_GLOBAL__N_130modified_bessel_i1_kernel_cudaERNS_18TensorIteratorBaseEENKUlvE_clEvENKUlvE_clEvEUldE_NS0_6memory8policies11unroll_baseILi256ESt5arrayIPcLm2EE23TrivialOffsetCalculatorILi1EjESF_NS8_15LoadWithoutCastENS8_16StoreWithoutCastELi4ELi1EEEEEvT0_T1_.has_recursion)
	.set _ZN2at6native29vectorized_elementwise_kernelILi8EZZZNS0_12_GLOBAL__N_130modified_bessel_i1_kernel_cudaERNS_18TensorIteratorBaseEENKUlvE_clEvENKUlvE_clEvEUldE_St5arrayIPcLm2EEEEviT0_T1_.has_indirect_call, or(0, .L_ZN2at6native25elementwise_kernel_helperILb0EZZZNS0_12_GLOBAL__N_130modified_bessel_i1_kernel_cudaERNS_18TensorIteratorBaseEENKUlvE_clEvENKUlvE_clEvEUldE_NS0_6memory8policies10vectorizedILi4ESt5arrayIPcLm2EELi4EEEEEvT0_T1_.has_indirect_call, .L_ZN2at6native25elementwise_kernel_helperILb0EZZZNS0_12_GLOBAL__N_130modified_bessel_i1_kernel_cudaERNS_18TensorIteratorBaseEENKUlvE_clEvENKUlvE_clEvEUldE_NS0_6memory8policies11unroll_baseILi256ESt5arrayIPcLm2EE23TrivialOffsetCalculatorILi1EjESF_NS8_15LoadWithoutCastENS8_16StoreWithoutCastELi4ELi1EEEEEvT0_T1_.has_indirect_call)
	.section	.AMDGPU.csdata,"",@progbits
; Kernel info:
; codeLenInByte = 164
; TotalNumSgprs: 37
; NumVgprs: 32
; ScratchSize: 0
; MemoryBound: 0
; FloatMode: 240
; IeeeMode: 1
; LDSByteSize: 0 bytes/workgroup (compile time only)
; SGPRBlocks: 4
; VGPRBlocks: 7
; NumSGPRsForWavesPerEU: 37
; NumVGPRsForWavesPerEU: 32
; Occupancy: 8
; WaveLimiterHint : 0
; COMPUTE_PGM_RSRC2:SCRATCH_EN: 0
; COMPUTE_PGM_RSRC2:USER_SGPR: 6
; COMPUTE_PGM_RSRC2:TRAP_HANDLER: 0
; COMPUTE_PGM_RSRC2:TGID_X_EN: 1
; COMPUTE_PGM_RSRC2:TGID_Y_EN: 0
; COMPUTE_PGM_RSRC2:TGID_Z_EN: 0
; COMPUTE_PGM_RSRC2:TIDIG_COMP_CNT: 0
	.section	.text._ZN2at6native29vectorized_elementwise_kernelILi4EZZZNS0_12_GLOBAL__N_130modified_bessel_i1_kernel_cudaERNS_18TensorIteratorBaseEENKUlvE_clEvENKUlvE_clEvEUldE_St5arrayIPcLm2EEEEviT0_T1_,"axG",@progbits,_ZN2at6native29vectorized_elementwise_kernelILi4EZZZNS0_12_GLOBAL__N_130modified_bessel_i1_kernel_cudaERNS_18TensorIteratorBaseEENKUlvE_clEvENKUlvE_clEvEUldE_St5arrayIPcLm2EEEEviT0_T1_,comdat
	.globl	_ZN2at6native29vectorized_elementwise_kernelILi4EZZZNS0_12_GLOBAL__N_130modified_bessel_i1_kernel_cudaERNS_18TensorIteratorBaseEENKUlvE_clEvENKUlvE_clEvEUldE_St5arrayIPcLm2EEEEviT0_T1_ ; -- Begin function _ZN2at6native29vectorized_elementwise_kernelILi4EZZZNS0_12_GLOBAL__N_130modified_bessel_i1_kernel_cudaERNS_18TensorIteratorBaseEENKUlvE_clEvENKUlvE_clEvEUldE_St5arrayIPcLm2EEEEviT0_T1_
	.p2align	8
	.type	_ZN2at6native29vectorized_elementwise_kernelILi4EZZZNS0_12_GLOBAL__N_130modified_bessel_i1_kernel_cudaERNS_18TensorIteratorBaseEENKUlvE_clEvENKUlvE_clEvEUldE_St5arrayIPcLm2EEEEviT0_T1_,@function
_ZN2at6native29vectorized_elementwise_kernelILi4EZZZNS0_12_GLOBAL__N_130modified_bessel_i1_kernel_cudaERNS_18TensorIteratorBaseEENKUlvE_clEvENKUlvE_clEvEUldE_St5arrayIPcLm2EEEEviT0_T1_: ; @_ZN2at6native29vectorized_elementwise_kernelILi4EZZZNS0_12_GLOBAL__N_130modified_bessel_i1_kernel_cudaERNS_18TensorIteratorBaseEENKUlvE_clEvENKUlvE_clEvEUldE_St5arrayIPcLm2EEEEviT0_T1_
; %bb.0:
	s_mov_b32 s12, s6
	s_load_dword s6, s[4:5], 0x0
	s_load_dwordx4 s[16:19], s[4:5], 0x8
	s_add_u32 s0, s0, s7
	s_addc_u32 s1, s1, 0
	s_lshl_b32 s4, s12, 10
	s_waitcnt lgkmcnt(0)
	s_sub_i32 s13, s6, s4
	v_mov_b32_e32 v31, v0
	s_cmpk_gt_i32 s13, 0x3ff
	s_mov_b64 s[4:5], -1
	s_mov_b32 s32, 0
	s_cbranch_scc1 .LBB4_3
; %bb.1:
	s_andn2_b64 vcc, exec, s[4:5]
	s_cbranch_vccz .LBB4_4
.LBB4_2:
	s_endpgm
.LBB4_3:
	s_getpc_b64 s[4:5]
	s_add_u32 s4, s4, _ZN2at6native25elementwise_kernel_helperILb0EZZZNS0_12_GLOBAL__N_130modified_bessel_i1_kernel_cudaERNS_18TensorIteratorBaseEENKUlvE_clEvENKUlvE_clEvEUldE_NS0_6memory8policies10vectorizedILi4ESt5arrayIPcLm2EELi4EEEEEvT0_T1_@rel32@lo+4
	s_addc_u32 s5, s5, _ZN2at6native25elementwise_kernel_helperILb0EZZZNS0_12_GLOBAL__N_130modified_bessel_i1_kernel_cudaERNS_18TensorIteratorBaseEENKUlvE_clEvENKUlvE_clEvEUldE_NS0_6memory8policies10vectorizedILi4ESt5arrayIPcLm2EELi4EEEEEvT0_T1_@rel32@hi+12
	v_mov_b32_e32 v0, s16
	v_mov_b32_e32 v1, s17
	;; [unrolled: 1-line block ×4, first 2 shown]
	s_swappc_b64 s[30:31], s[4:5]
	s_cbranch_execnz .LBB4_2
.LBB4_4:
	s_getpc_b64 s[4:5]
	s_add_u32 s4, s4, _ZN2at6native25elementwise_kernel_helperILb0EZZZNS0_12_GLOBAL__N_130modified_bessel_i1_kernel_cudaERNS_18TensorIteratorBaseEENKUlvE_clEvENKUlvE_clEvEUldE_NS0_6memory8policies11unroll_baseILi256ESt5arrayIPcLm2EE23TrivialOffsetCalculatorILi1EjESF_NS8_15LoadWithoutCastENS8_16StoreWithoutCastELi4ELi1EEEEEvT0_T1_@rel32@lo+4
	s_addc_u32 s5, s5, _ZN2at6native25elementwise_kernel_helperILb0EZZZNS0_12_GLOBAL__N_130modified_bessel_i1_kernel_cudaERNS_18TensorIteratorBaseEENKUlvE_clEvENKUlvE_clEvEUldE_NS0_6memory8policies11unroll_baseILi256ESt5arrayIPcLm2EE23TrivialOffsetCalculatorILi1EjESF_NS8_15LoadWithoutCastENS8_16StoreWithoutCastELi4ELi1EEEEEvT0_T1_@rel32@hi+12
	v_mov_b32_e32 v0, s16
	v_mov_b32_e32 v1, s17
	;; [unrolled: 1-line block ×5, first 2 shown]
	s_swappc_b64 s[30:31], s[4:5]
	s_endpgm
	.section	.rodata,"a",@progbits
	.p2align	6, 0x0
	.amdhsa_kernel _ZN2at6native29vectorized_elementwise_kernelILi4EZZZNS0_12_GLOBAL__N_130modified_bessel_i1_kernel_cudaERNS_18TensorIteratorBaseEENKUlvE_clEvENKUlvE_clEvEUldE_St5arrayIPcLm2EEEEviT0_T1_
		.amdhsa_group_segment_fixed_size 0
		.amdhsa_private_segment_fixed_size 0
		.amdhsa_kernarg_size 24
		.amdhsa_user_sgpr_count 6
		.amdhsa_user_sgpr_private_segment_buffer 1
		.amdhsa_user_sgpr_dispatch_ptr 0
		.amdhsa_user_sgpr_queue_ptr 0
		.amdhsa_user_sgpr_kernarg_segment_ptr 1
		.amdhsa_user_sgpr_dispatch_id 0
		.amdhsa_user_sgpr_flat_scratch_init 0
		.amdhsa_user_sgpr_private_segment_size 0
		.amdhsa_uses_dynamic_stack 0
		.amdhsa_system_sgpr_private_segment_wavefront_offset 0
		.amdhsa_system_sgpr_workgroup_id_x 1
		.amdhsa_system_sgpr_workgroup_id_y 0
		.amdhsa_system_sgpr_workgroup_id_z 0
		.amdhsa_system_sgpr_workgroup_info 0
		.amdhsa_system_vgpr_workitem_id 0
		.amdhsa_next_free_vgpr 32
		.amdhsa_next_free_sgpr 33
		.amdhsa_reserve_vcc 1
		.amdhsa_reserve_flat_scratch 0
		.amdhsa_float_round_mode_32 0
		.amdhsa_float_round_mode_16_64 0
		.amdhsa_float_denorm_mode_32 3
		.amdhsa_float_denorm_mode_16_64 3
		.amdhsa_dx10_clamp 1
		.amdhsa_ieee_mode 1
		.amdhsa_fp16_overflow 0
		.amdhsa_exception_fp_ieee_invalid_op 0
		.amdhsa_exception_fp_denorm_src 0
		.amdhsa_exception_fp_ieee_div_zero 0
		.amdhsa_exception_fp_ieee_overflow 0
		.amdhsa_exception_fp_ieee_underflow 0
		.amdhsa_exception_fp_ieee_inexact 0
		.amdhsa_exception_int_div_zero 0
	.end_amdhsa_kernel
	.section	.text._ZN2at6native29vectorized_elementwise_kernelILi4EZZZNS0_12_GLOBAL__N_130modified_bessel_i1_kernel_cudaERNS_18TensorIteratorBaseEENKUlvE_clEvENKUlvE_clEvEUldE_St5arrayIPcLm2EEEEviT0_T1_,"axG",@progbits,_ZN2at6native29vectorized_elementwise_kernelILi4EZZZNS0_12_GLOBAL__N_130modified_bessel_i1_kernel_cudaERNS_18TensorIteratorBaseEENKUlvE_clEvENKUlvE_clEvEUldE_St5arrayIPcLm2EEEEviT0_T1_,comdat
.Lfunc_end4:
	.size	_ZN2at6native29vectorized_elementwise_kernelILi4EZZZNS0_12_GLOBAL__N_130modified_bessel_i1_kernel_cudaERNS_18TensorIteratorBaseEENKUlvE_clEvENKUlvE_clEvEUldE_St5arrayIPcLm2EEEEviT0_T1_, .Lfunc_end4-_ZN2at6native29vectorized_elementwise_kernelILi4EZZZNS0_12_GLOBAL__N_130modified_bessel_i1_kernel_cudaERNS_18TensorIteratorBaseEENKUlvE_clEvENKUlvE_clEvEUldE_St5arrayIPcLm2EEEEviT0_T1_
                                        ; -- End function
	.set _ZN2at6native29vectorized_elementwise_kernelILi4EZZZNS0_12_GLOBAL__N_130modified_bessel_i1_kernel_cudaERNS_18TensorIteratorBaseEENKUlvE_clEvENKUlvE_clEvEUldE_St5arrayIPcLm2EEEEviT0_T1_.num_vgpr, max(32, .L_ZN2at6native25elementwise_kernel_helperILb0EZZZNS0_12_GLOBAL__N_130modified_bessel_i1_kernel_cudaERNS_18TensorIteratorBaseEENKUlvE_clEvENKUlvE_clEvEUldE_NS0_6memory8policies10vectorizedILi4ESt5arrayIPcLm2EELi4EEEEEvT0_T1_.num_vgpr, .L_ZN2at6native25elementwise_kernel_helperILb0EZZZNS0_12_GLOBAL__N_130modified_bessel_i1_kernel_cudaERNS_18TensorIteratorBaseEENKUlvE_clEvENKUlvE_clEvEUldE_NS0_6memory8policies11unroll_baseILi256ESt5arrayIPcLm2EE23TrivialOffsetCalculatorILi1EjESF_NS8_15LoadWithoutCastENS8_16StoreWithoutCastELi4ELi1EEEEEvT0_T1_.num_vgpr)
	.set _ZN2at6native29vectorized_elementwise_kernelILi4EZZZNS0_12_GLOBAL__N_130modified_bessel_i1_kernel_cudaERNS_18TensorIteratorBaseEENKUlvE_clEvENKUlvE_clEvEUldE_St5arrayIPcLm2EEEEviT0_T1_.num_agpr, max(0, .L_ZN2at6native25elementwise_kernel_helperILb0EZZZNS0_12_GLOBAL__N_130modified_bessel_i1_kernel_cudaERNS_18TensorIteratorBaseEENKUlvE_clEvENKUlvE_clEvEUldE_NS0_6memory8policies10vectorizedILi4ESt5arrayIPcLm2EELi4EEEEEvT0_T1_.num_agpr, .L_ZN2at6native25elementwise_kernel_helperILb0EZZZNS0_12_GLOBAL__N_130modified_bessel_i1_kernel_cudaERNS_18TensorIteratorBaseEENKUlvE_clEvENKUlvE_clEvEUldE_NS0_6memory8policies11unroll_baseILi256ESt5arrayIPcLm2EE23TrivialOffsetCalculatorILi1EjESF_NS8_15LoadWithoutCastENS8_16StoreWithoutCastELi4ELi1EEEEEvT0_T1_.num_agpr)
	.set _ZN2at6native29vectorized_elementwise_kernelILi4EZZZNS0_12_GLOBAL__N_130modified_bessel_i1_kernel_cudaERNS_18TensorIteratorBaseEENKUlvE_clEvENKUlvE_clEvEUldE_St5arrayIPcLm2EEEEviT0_T1_.numbered_sgpr, max(33, .L_ZN2at6native25elementwise_kernel_helperILb0EZZZNS0_12_GLOBAL__N_130modified_bessel_i1_kernel_cudaERNS_18TensorIteratorBaseEENKUlvE_clEvENKUlvE_clEvEUldE_NS0_6memory8policies10vectorizedILi4ESt5arrayIPcLm2EELi4EEEEEvT0_T1_.numbered_sgpr, .L_ZN2at6native25elementwise_kernel_helperILb0EZZZNS0_12_GLOBAL__N_130modified_bessel_i1_kernel_cudaERNS_18TensorIteratorBaseEENKUlvE_clEvENKUlvE_clEvEUldE_NS0_6memory8policies11unroll_baseILi256ESt5arrayIPcLm2EE23TrivialOffsetCalculatorILi1EjESF_NS8_15LoadWithoutCastENS8_16StoreWithoutCastELi4ELi1EEEEEvT0_T1_.numbered_sgpr)
	.set _ZN2at6native29vectorized_elementwise_kernelILi4EZZZNS0_12_GLOBAL__N_130modified_bessel_i1_kernel_cudaERNS_18TensorIteratorBaseEENKUlvE_clEvENKUlvE_clEvEUldE_St5arrayIPcLm2EEEEviT0_T1_.num_named_barrier, max(0, .L_ZN2at6native25elementwise_kernel_helperILb0EZZZNS0_12_GLOBAL__N_130modified_bessel_i1_kernel_cudaERNS_18TensorIteratorBaseEENKUlvE_clEvENKUlvE_clEvEUldE_NS0_6memory8policies10vectorizedILi4ESt5arrayIPcLm2EELi4EEEEEvT0_T1_.num_named_barrier, .L_ZN2at6native25elementwise_kernel_helperILb0EZZZNS0_12_GLOBAL__N_130modified_bessel_i1_kernel_cudaERNS_18TensorIteratorBaseEENKUlvE_clEvENKUlvE_clEvEUldE_NS0_6memory8policies11unroll_baseILi256ESt5arrayIPcLm2EE23TrivialOffsetCalculatorILi1EjESF_NS8_15LoadWithoutCastENS8_16StoreWithoutCastELi4ELi1EEEEEvT0_T1_.num_named_barrier)
	.set _ZN2at6native29vectorized_elementwise_kernelILi4EZZZNS0_12_GLOBAL__N_130modified_bessel_i1_kernel_cudaERNS_18TensorIteratorBaseEENKUlvE_clEvENKUlvE_clEvEUldE_St5arrayIPcLm2EEEEviT0_T1_.private_seg_size, 0+max(.L_ZN2at6native25elementwise_kernel_helperILb0EZZZNS0_12_GLOBAL__N_130modified_bessel_i1_kernel_cudaERNS_18TensorIteratorBaseEENKUlvE_clEvENKUlvE_clEvEUldE_NS0_6memory8policies10vectorizedILi4ESt5arrayIPcLm2EELi4EEEEEvT0_T1_.private_seg_size, .L_ZN2at6native25elementwise_kernel_helperILb0EZZZNS0_12_GLOBAL__N_130modified_bessel_i1_kernel_cudaERNS_18TensorIteratorBaseEENKUlvE_clEvENKUlvE_clEvEUldE_NS0_6memory8policies11unroll_baseILi256ESt5arrayIPcLm2EE23TrivialOffsetCalculatorILi1EjESF_NS8_15LoadWithoutCastENS8_16StoreWithoutCastELi4ELi1EEEEEvT0_T1_.private_seg_size)
	.set _ZN2at6native29vectorized_elementwise_kernelILi4EZZZNS0_12_GLOBAL__N_130modified_bessel_i1_kernel_cudaERNS_18TensorIteratorBaseEENKUlvE_clEvENKUlvE_clEvEUldE_St5arrayIPcLm2EEEEviT0_T1_.uses_vcc, or(1, .L_ZN2at6native25elementwise_kernel_helperILb0EZZZNS0_12_GLOBAL__N_130modified_bessel_i1_kernel_cudaERNS_18TensorIteratorBaseEENKUlvE_clEvENKUlvE_clEvEUldE_NS0_6memory8policies10vectorizedILi4ESt5arrayIPcLm2EELi4EEEEEvT0_T1_.uses_vcc, .L_ZN2at6native25elementwise_kernel_helperILb0EZZZNS0_12_GLOBAL__N_130modified_bessel_i1_kernel_cudaERNS_18TensorIteratorBaseEENKUlvE_clEvENKUlvE_clEvEUldE_NS0_6memory8policies11unroll_baseILi256ESt5arrayIPcLm2EE23TrivialOffsetCalculatorILi1EjESF_NS8_15LoadWithoutCastENS8_16StoreWithoutCastELi4ELi1EEEEEvT0_T1_.uses_vcc)
	.set _ZN2at6native29vectorized_elementwise_kernelILi4EZZZNS0_12_GLOBAL__N_130modified_bessel_i1_kernel_cudaERNS_18TensorIteratorBaseEENKUlvE_clEvENKUlvE_clEvEUldE_St5arrayIPcLm2EEEEviT0_T1_.uses_flat_scratch, or(0, .L_ZN2at6native25elementwise_kernel_helperILb0EZZZNS0_12_GLOBAL__N_130modified_bessel_i1_kernel_cudaERNS_18TensorIteratorBaseEENKUlvE_clEvENKUlvE_clEvEUldE_NS0_6memory8policies10vectorizedILi4ESt5arrayIPcLm2EELi4EEEEEvT0_T1_.uses_flat_scratch, .L_ZN2at6native25elementwise_kernel_helperILb0EZZZNS0_12_GLOBAL__N_130modified_bessel_i1_kernel_cudaERNS_18TensorIteratorBaseEENKUlvE_clEvENKUlvE_clEvEUldE_NS0_6memory8policies11unroll_baseILi256ESt5arrayIPcLm2EE23TrivialOffsetCalculatorILi1EjESF_NS8_15LoadWithoutCastENS8_16StoreWithoutCastELi4ELi1EEEEEvT0_T1_.uses_flat_scratch)
	.set _ZN2at6native29vectorized_elementwise_kernelILi4EZZZNS0_12_GLOBAL__N_130modified_bessel_i1_kernel_cudaERNS_18TensorIteratorBaseEENKUlvE_clEvENKUlvE_clEvEUldE_St5arrayIPcLm2EEEEviT0_T1_.has_dyn_sized_stack, or(0, .L_ZN2at6native25elementwise_kernel_helperILb0EZZZNS0_12_GLOBAL__N_130modified_bessel_i1_kernel_cudaERNS_18TensorIteratorBaseEENKUlvE_clEvENKUlvE_clEvEUldE_NS0_6memory8policies10vectorizedILi4ESt5arrayIPcLm2EELi4EEEEEvT0_T1_.has_dyn_sized_stack, .L_ZN2at6native25elementwise_kernel_helperILb0EZZZNS0_12_GLOBAL__N_130modified_bessel_i1_kernel_cudaERNS_18TensorIteratorBaseEENKUlvE_clEvENKUlvE_clEvEUldE_NS0_6memory8policies11unroll_baseILi256ESt5arrayIPcLm2EE23TrivialOffsetCalculatorILi1EjESF_NS8_15LoadWithoutCastENS8_16StoreWithoutCastELi4ELi1EEEEEvT0_T1_.has_dyn_sized_stack)
	.set _ZN2at6native29vectorized_elementwise_kernelILi4EZZZNS0_12_GLOBAL__N_130modified_bessel_i1_kernel_cudaERNS_18TensorIteratorBaseEENKUlvE_clEvENKUlvE_clEvEUldE_St5arrayIPcLm2EEEEviT0_T1_.has_recursion, or(0, .L_ZN2at6native25elementwise_kernel_helperILb0EZZZNS0_12_GLOBAL__N_130modified_bessel_i1_kernel_cudaERNS_18TensorIteratorBaseEENKUlvE_clEvENKUlvE_clEvEUldE_NS0_6memory8policies10vectorizedILi4ESt5arrayIPcLm2EELi4EEEEEvT0_T1_.has_recursion, .L_ZN2at6native25elementwise_kernel_helperILb0EZZZNS0_12_GLOBAL__N_130modified_bessel_i1_kernel_cudaERNS_18TensorIteratorBaseEENKUlvE_clEvENKUlvE_clEvEUldE_NS0_6memory8policies11unroll_baseILi256ESt5arrayIPcLm2EE23TrivialOffsetCalculatorILi1EjESF_NS8_15LoadWithoutCastENS8_16StoreWithoutCastELi4ELi1EEEEEvT0_T1_.has_recursion)
	.set _ZN2at6native29vectorized_elementwise_kernelILi4EZZZNS0_12_GLOBAL__N_130modified_bessel_i1_kernel_cudaERNS_18TensorIteratorBaseEENKUlvE_clEvENKUlvE_clEvEUldE_St5arrayIPcLm2EEEEviT0_T1_.has_indirect_call, or(0, .L_ZN2at6native25elementwise_kernel_helperILb0EZZZNS0_12_GLOBAL__N_130modified_bessel_i1_kernel_cudaERNS_18TensorIteratorBaseEENKUlvE_clEvENKUlvE_clEvEUldE_NS0_6memory8policies10vectorizedILi4ESt5arrayIPcLm2EELi4EEEEEvT0_T1_.has_indirect_call, .L_ZN2at6native25elementwise_kernel_helperILb0EZZZNS0_12_GLOBAL__N_130modified_bessel_i1_kernel_cudaERNS_18TensorIteratorBaseEENKUlvE_clEvENKUlvE_clEvEUldE_NS0_6memory8policies11unroll_baseILi256ESt5arrayIPcLm2EE23TrivialOffsetCalculatorILi1EjESF_NS8_15LoadWithoutCastENS8_16StoreWithoutCastELi4ELi1EEEEEvT0_T1_.has_indirect_call)
	.section	.AMDGPU.csdata,"",@progbits
; Kernel info:
; codeLenInByte = 164
; TotalNumSgprs: 37
; NumVgprs: 32
; ScratchSize: 0
; MemoryBound: 0
; FloatMode: 240
; IeeeMode: 1
; LDSByteSize: 0 bytes/workgroup (compile time only)
; SGPRBlocks: 4
; VGPRBlocks: 7
; NumSGPRsForWavesPerEU: 37
; NumVGPRsForWavesPerEU: 32
; Occupancy: 8
; WaveLimiterHint : 0
; COMPUTE_PGM_RSRC2:SCRATCH_EN: 0
; COMPUTE_PGM_RSRC2:USER_SGPR: 6
; COMPUTE_PGM_RSRC2:TRAP_HANDLER: 0
; COMPUTE_PGM_RSRC2:TGID_X_EN: 1
; COMPUTE_PGM_RSRC2:TGID_Y_EN: 0
; COMPUTE_PGM_RSRC2:TGID_Z_EN: 0
; COMPUTE_PGM_RSRC2:TIDIG_COMP_CNT: 0
	.section	.text._ZN2at6native29vectorized_elementwise_kernelILi2EZZZNS0_12_GLOBAL__N_130modified_bessel_i1_kernel_cudaERNS_18TensorIteratorBaseEENKUlvE_clEvENKUlvE_clEvEUldE_St5arrayIPcLm2EEEEviT0_T1_,"axG",@progbits,_ZN2at6native29vectorized_elementwise_kernelILi2EZZZNS0_12_GLOBAL__N_130modified_bessel_i1_kernel_cudaERNS_18TensorIteratorBaseEENKUlvE_clEvENKUlvE_clEvEUldE_St5arrayIPcLm2EEEEviT0_T1_,comdat
	.globl	_ZN2at6native29vectorized_elementwise_kernelILi2EZZZNS0_12_GLOBAL__N_130modified_bessel_i1_kernel_cudaERNS_18TensorIteratorBaseEENKUlvE_clEvENKUlvE_clEvEUldE_St5arrayIPcLm2EEEEviT0_T1_ ; -- Begin function _ZN2at6native29vectorized_elementwise_kernelILi2EZZZNS0_12_GLOBAL__N_130modified_bessel_i1_kernel_cudaERNS_18TensorIteratorBaseEENKUlvE_clEvENKUlvE_clEvEUldE_St5arrayIPcLm2EEEEviT0_T1_
	.p2align	8
	.type	_ZN2at6native29vectorized_elementwise_kernelILi2EZZZNS0_12_GLOBAL__N_130modified_bessel_i1_kernel_cudaERNS_18TensorIteratorBaseEENKUlvE_clEvENKUlvE_clEvEUldE_St5arrayIPcLm2EEEEviT0_T1_,@function
_ZN2at6native29vectorized_elementwise_kernelILi2EZZZNS0_12_GLOBAL__N_130modified_bessel_i1_kernel_cudaERNS_18TensorIteratorBaseEENKUlvE_clEvENKUlvE_clEvEUldE_St5arrayIPcLm2EEEEviT0_T1_: ; @_ZN2at6native29vectorized_elementwise_kernelILi2EZZZNS0_12_GLOBAL__N_130modified_bessel_i1_kernel_cudaERNS_18TensorIteratorBaseEENKUlvE_clEvENKUlvE_clEvEUldE_St5arrayIPcLm2EEEEviT0_T1_
; %bb.0:
	s_add_u32 s0, s0, s7
	s_load_dword s7, s[4:5], 0x0
	s_load_dwordx4 s[8:11], s[4:5], 0x8
	s_addc_u32 s1, s1, 0
	s_lshl_b32 s4, s6, 10
	s_mov_b64 s[12:13], -1
	s_waitcnt lgkmcnt(0)
	s_sub_i32 s7, s7, s4
	s_cmpk_gt_i32 s7, 0x3ff
	s_mov_b32 s32, 0
	s_cbranch_scc1 .LBB5_3
; %bb.1:
	s_and_b64 vcc, exec, s[12:13]
	s_cbranch_vccnz .LBB5_52
.LBB5_2:
	s_endpgm
.LBB5_3:
	s_ashr_i32 s5, s4, 31
	s_lshl_b64 s[12:13], s[4:5], 3
	s_add_u32 s4, s10, s12
	s_addc_u32 s5, s11, s13
	v_lshlrev_b32_e32 v15, 4, v0
	global_load_dwordx4 v[7:10], v15, s[4:5]
	v_mov_b32_e32 v1, s5
	v_add_co_u32_e32 v2, vcc, s4, v15
	v_addc_co_u32_e32 v3, vcc, 0, v1, vcc
	v_add_co_u32_e32 v1, vcc, 0x1000, v2
	v_addc_co_u32_e32 v2, vcc, 0, v3, vcc
	global_load_dwordx4 v[1:4], v[1:2], off
	s_mov_b32 s4, 0
	s_mov_b32 s5, 0x40200000
                                        ; implicit-def: $vgpr5_vgpr6
	s_waitcnt vmcnt(1)
	v_cmp_le_f64_e64 s[4:5], |v[7:8]|, s[4:5]
	s_and_saveexec_b64 s[14:15], s[4:5]
	s_xor_b64 s[4:5], exec, s[14:15]
	s_cbranch_execz .LBB5_9
; %bb.4:
	v_fma_f64 v[5:6], |v[7:8]|, 0.5, -2.0
	v_mov_b32_e32 v11, 0xc38a0576
	v_mov_b32_e32 v12, 0xbc7857d0
	s_mov_b32 s15, 0x3c499f2a
	s_mov_b32 s14, 0xc3c4014
	;; [unrolled: 1-line block ×4, first 2 shown]
	v_mov_b32_e32 v20, 0xfca7ab0c
	v_fma_f64 v[11:12], v[5:6], s[14:15], v[11:12]
	s_mov_b32 s15, 0xbc499f2a
	v_mov_b32_e32 v21, 0x3e928af3
	v_cmp_ngt_f64_e32 vcc, 0, v[7:8]
	v_fma_f64 v[13:14], v[5:6], v[11:12], s[14:15]
	s_mov_b32 s14, 0xe593bfac
	s_mov_b32 s15, 0x3ca663e3
	v_add_f64 v[13:14], v[13:14], s[14:15]
	s_mov_b32 s14, 0x7e0d1573
	s_mov_b32 s15, 0xbcd3eaaa
	v_fma_f64 v[11:12], v[5:6], v[13:14], -v[11:12]
	v_add_f64 v[11:12], v[11:12], s[14:15]
	s_mov_b32 s14, 0x615290c
	s_mov_b32 s15, 0x3d011d7f
	v_fma_f64 v[13:14], v[5:6], v[11:12], -v[13:14]
	;; [unrolled: 4-line block ×20, first 2 shown]
	v_add_f64 v[13:14], v[13:14], s[14:15]
	s_mov_b32 s14, 0x652b82fe
	s_mov_b32 s15, 0x3ff71547
	v_mul_f64 v[16:17], |v[7:8]|, s[14:15]
	s_mov_b32 s14, 0x7913a26a
	s_mov_b32 s15, 0xbf85a29f
	v_fma_f64 v[11:12], v[5:6], v[13:14], -v[11:12]
	v_rndne_f64_e32 v[16:17], v[16:17]
	v_add_f64 v[11:12], v[11:12], s[14:15]
	s_mov_b32 s14, 0xfefa39ef
	s_mov_b32 s15, 0xbfe62e42
	v_fma_f64 v[18:19], v[16:17], s[14:15], |v[7:8]|
	s_mov_b32 s14, 0xe7bb2349
	s_mov_b32 s15, 0x3f9951e3
	v_fma_f64 v[13:14], v[5:6], v[11:12], -v[13:14]
	v_fma_f64 v[18:19], v[16:17], s[16:17], v[18:19]
	s_mov_b32 s16, 0x623fde64
	s_mov_b32 s17, 0x3ec71dee
	v_cvt_i32_f64_e32 v16, v[16:17]
	v_add_f64 v[13:14], v[13:14], s[14:15]
	s_mov_b32 s14, 0x6a5dcb37
	s_mov_b32 s15, 0x3e5ade15
	v_fma_f64 v[20:21], v[18:19], s[14:15], v[20:21]
	s_mov_b32 s14, 0x537c9ebc
	s_mov_b32 s15, 0xbfab1bbc
	v_fma_f64 v[11:12], v[5:6], v[13:14], -v[11:12]
	v_fma_f64 v[20:21], v[18:19], v[20:21], s[16:17]
	s_mov_b32 s16, 0x14761f6e
	s_mov_b32 s17, 0x3f2a01a0
	v_add_f64 v[11:12], v[11:12], s[14:15]
	s_mov_b32 s14, 0x7c89e6b0
	s_mov_b32 s15, 0x3efa0199
	v_fma_f64 v[20:21], v[18:19], v[20:21], s[14:15]
	s_mov_b32 s14, 0xd536f53c
	s_mov_b32 s15, 0x3fba46da
	v_fma_f64 v[13:14], v[5:6], v[11:12], -v[13:14]
	v_fma_f64 v[20:21], v[18:19], v[20:21], s[16:17]
	s_mov_b32 s16, 0x11122322
	s_mov_b32 s17, 0x3f811111
	;; [unrolled: 10-line block ×3, first 2 shown]
	v_add_f64 v[11:12], v[11:12], s[14:15]
	s_mov_b32 s14, 0x555502a1
	s_mov_b32 s15, 0x3fa55555
	v_fma_f64 v[5:6], v[5:6], v[11:12], -v[13:14]
	v_fma_f64 v[11:12], v[18:19], v[20:21], s[14:15]
	s_mov_b32 s14, 0x724a7ffa
	s_mov_b32 s15, 0x3fd02a63
	v_add_f64 v[5:6], v[5:6], s[14:15]
	v_fma_f64 v[11:12], v[18:19], v[11:12], s[16:17]
	s_mov_b32 s14, 11
	s_mov_b32 s15, 0x3fe00000
	v_add_f64 v[5:6], v[5:6], -v[13:14]
	v_fma_f64 v[11:12], v[18:19], v[11:12], s[14:15]
	v_mul_f64 v[5:6], v[5:6], 0.5
	v_fma_f64 v[13:14], v[18:19], v[11:12], 1.0
	v_mul_f64 v[11:12], |v[7:8]|, v[5:6]
	v_fma_f64 v[13:14], v[18:19], v[13:14], 1.0
                                        ; implicit-def: $vgpr5_vgpr6
	s_and_saveexec_b64 s[14:15], vcc
	s_xor_b64 s[14:15], exec, s[14:15]
	s_cbranch_execz .LBB5_6
; %bb.5:
	s_mov_b32 s16, 0
	s_mov_b32 s17, 0x40900000
	v_ldexp_f64 v[5:6], v[13:14], v16
	v_cmp_ngt_f64_e64 vcc, |v[7:8]|, s[16:17]
	v_mov_b32_e32 v13, 0x7ff00000
                                        ; implicit-def: $vgpr16
	v_cndmask_b32_e32 v6, v13, v6, vcc
	v_cndmask_b32_e32 v5, 0, v5, vcc
	v_mul_f64 v[5:6], v[5:6], v[11:12]
                                        ; implicit-def: $vgpr13_vgpr14
                                        ; implicit-def: $vgpr11_vgpr12
.LBB5_6:
	s_andn2_saveexec_b64 s[14:15], s[14:15]
	s_cbranch_execz .LBB5_8
; %bb.7:
	s_mov_b32 s16, 0
	s_mov_b32 s17, 0x40900000
	v_ldexp_f64 v[5:6], -v[13:14], v16
	v_cmp_ngt_f64_e64 vcc, |v[7:8]|, s[16:17]
	v_mov_b32_e32 v13, 0xfff00000
	v_cndmask_b32_e32 v6, v13, v6, vcc
	v_cndmask_b32_e32 v5, 0, v5, vcc
	v_mul_f64 v[5:6], v[5:6], v[11:12]
.LBB5_8:
	s_or_b64 exec, exec, s[14:15]
.LBB5_9:
	s_andn2_saveexec_b64 s[14:15], s[4:5]
	s_cbranch_execz .LBB5_15
; %bb.10:
	s_mov_b32 s4, 0
	v_and_b32_e32 v6, 0x7fffffff, v8
	v_mov_b32_e32 v5, v7
	s_mov_b32 s5, 0x40400000
	v_div_scale_f64 v[11:12], s[16:17], v[5:6], v[5:6], s[4:5]
	v_div_scale_f64 v[5:6], vcc, s[4:5], v[5:6], s[4:5]
	v_mov_b32_e32 v20, 0xfca7ab0c
	v_mov_b32_e32 v21, 0x3e928af3
	v_rcp_f64_e32 v[13:14], v[11:12]
	v_fma_f64 v[16:17], -v[11:12], v[13:14], 1.0
	v_fma_f64 v[13:14], v[13:14], v[16:17], v[13:14]
	v_fma_f64 v[16:17], -v[11:12], v[13:14], 1.0
	v_fma_f64 v[13:14], v[13:14], v[16:17], v[13:14]
	v_mul_f64 v[16:17], v[5:6], v[13:14]
	v_fma_f64 v[5:6], -v[11:12], v[16:17], v[5:6]
	v_mov_b32_e32 v11, 0xea87b950
	v_mov_b32_e32 v12, 0x3c545b8a
	v_div_fmas_f64 v[5:6], v[5:6], v[13:14], v[16:17]
	v_cmp_ngt_f64_e32 vcc, 0, v[7:8]
	v_div_fixup_f64 v[5:6], v[5:6], |v[7:8]|, s[4:5]
	s_mov_b32 s5, 0x3c61556d
	s_mov_b32 s4, 0xb352e8e6
	v_add_f64 v[5:6], v[5:6], -2.0
	v_fma_f64 v[11:12], v[5:6], s[4:5], v[11:12]
	s_mov_b32 s5, 0xbc61556d
	v_fma_f64 v[13:14], v[5:6], v[11:12], s[4:5]
	s_mov_b32 s4, 0xb2532277
	s_mov_b32 s5, 0xbc8acea3
	v_add_f64 v[13:14], v[13:14], s[4:5]
	s_mov_b32 s4, 0x9c773320
	s_mov_b32 s5, 0xbc82806c
	v_fma_f64 v[11:12], v[5:6], v[13:14], -v[11:12]
	v_add_f64 v[11:12], v[11:12], s[4:5]
	s_mov_b32 s4, 0xfceb588a
	s_mov_b32 s5, 0x3cb55915
	v_fma_f64 v[13:14], v[5:6], v[11:12], -v[13:14]
	v_add_f64 v[13:14], v[13:14], s[4:5]
	s_mov_b32 s4, 0x5f04a2d1
	s_mov_b32 s5, 0x3cb7d68e
	v_fma_f64 v[11:12], v[5:6], v[13:14], -v[11:12]
	v_add_f64 v[11:12], v[11:12], s[4:5]
	s_mov_b32 s4, 0x8bc4d22a
	s_mov_b32 s5, 0xbce0efcd
	v_fma_f64 v[13:14], v[5:6], v[11:12], -v[13:14]
	v_add_f64 v[13:14], v[13:14], s[4:5]
	s_mov_b32 s4, 0x138afbc7
	s_mov_b32 s5, 0xbcf12db5
	v_fma_f64 v[11:12], v[5:6], v[13:14], -v[11:12]
	v_add_f64 v[11:12], v[11:12], s[4:5]
	s_mov_b32 s4, 0x762d31e8
	s_mov_b32 s5, 0x3d0776e1
	v_fma_f64 v[13:14], v[5:6], v[11:12], -v[13:14]
	v_add_f64 v[13:14], v[13:14], s[4:5]
	s_mov_b32 s4, 0x26b3281e
	s_mov_b32 s5, 0x3d280d3c
	v_fma_f64 v[11:12], v[5:6], v[13:14], -v[11:12]
	v_add_f64 v[11:12], v[11:12], s[4:5]
	s_mov_b32 s4, 0x2e6d22a0
	s_mov_b32 s5, 0xbd17a948
	v_fma_f64 v[13:14], v[5:6], v[11:12], -v[13:14]
	v_add_f64 v[13:14], v[13:14], s[4:5]
	s_mov_b32 s4, 0x8e73e255
	s_mov_b32 s5, 0xbd5cbc45
	v_fma_f64 v[11:12], v[5:6], v[13:14], -v[11:12]
	v_add_f64 v[11:12], v[11:12], s[4:5]
	s_mov_b32 s4, 0x76ab493
	s_mov_b32 s5, 0xbd6953e1
	v_fma_f64 v[13:14], v[5:6], v[11:12], -v[13:14]
	v_add_f64 v[13:14], v[13:14], s[4:5]
	s_mov_b32 s4, 0xf6439fa3
	s_mov_b32 s5, 0x3d81e7d3
	v_fma_f64 v[11:12], v[5:6], v[13:14], -v[11:12]
	v_add_f64 v[11:12], v[11:12], s[4:5]
	s_mov_b32 s4, 0x653c457b
	s_mov_b32 s5, 0x3daf101f
	v_fma_f64 v[13:14], v[5:6], v[11:12], -v[13:14]
	v_add_f64 v[13:14], v[13:14], s[4:5]
	s_mov_b32 s4, 0xf1587865
	s_mov_b32 s5, 0x3dc1e1a1
	v_fma_f64 v[11:12], v[5:6], v[13:14], -v[11:12]
	v_add_f64 v[11:12], v[11:12], s[4:5]
	s_mov_b32 s4, 0xd4504c0c
	s_mov_b32 s5, 0xbdb4dcf9
	v_fma_f64 v[13:14], v[5:6], v[11:12], -v[13:14]
	v_add_f64 v[13:14], v[13:14], s[4:5]
	s_mov_b32 s4, 0x652b82fe
	s_mov_b32 s5, 0x3ff71547
	v_mul_f64 v[16:17], |v[7:8]|, s[4:5]
	s_mov_b32 s4, 0x5423dd80
	s_mov_b32 s5, 0xbe0334ca
	v_fma_f64 v[11:12], v[5:6], v[13:14], -v[11:12]
	v_rndne_f64_e32 v[16:17], v[16:17]
	v_add_f64 v[11:12], v[11:12], s[4:5]
	s_mov_b32 s4, 0xfefa39ef
	s_mov_b32 s5, 0xbfe62e42
	v_fma_f64 v[18:19], v[16:17], s[4:5], |v[7:8]|
	s_mov_b32 s4, 0x9ad53528
	s_mov_b32 s5, 0xbe30790b
	v_fma_f64 v[13:14], v[5:6], v[11:12], -v[13:14]
	v_add_f64 v[13:14], v[13:14], s[4:5]
	s_mov_b32 s4, 0x3b39803f
	s_mov_b32 s5, 0xbc7abc9e
	v_fma_f64 v[18:19], v[16:17], s[4:5], v[18:19]
	s_mov_b32 s4, 0x6a5dcb37
	s_mov_b32 s5, 0x3e5ade15
	v_cvt_i32_f64_e32 v16, v[16:17]
	v_fma_f64 v[11:12], v[5:6], v[13:14], -v[11:12]
	v_fma_f64 v[20:21], v[18:19], s[4:5], v[20:21]
	s_mov_b32 s4, 0x94bb46c1
	s_mov_b32 s5, 0xbe5c4153
	v_add_f64 v[11:12], v[11:12], s[4:5]
	s_mov_b32 s4, 0x623fde64
	s_mov_b32 s5, 0x3ec71dee
	v_fma_f64 v[20:21], v[18:19], v[20:21], s[4:5]
	s_mov_b32 s4, 0x7c89e6b0
	s_mov_b32 s5, 0x3efa0199
	v_fma_f64 v[13:14], v[5:6], v[11:12], -v[13:14]
	v_fma_f64 v[20:21], v[18:19], v[20:21], s[4:5]
	s_mov_b32 s4, 0x2e9e5443
	s_mov_b32 s5, 0xbe90dbfd
	v_add_f64 v[13:14], v[13:14], s[4:5]
	s_mov_b32 s4, 0x14761f6e
	s_mov_b32 s5, 0x3f2a01a0
	v_fma_f64 v[20:21], v[18:19], v[20:21], s[4:5]
	s_mov_b32 s4, 0x1852b7b0
	s_mov_b32 s5, 0x3f56c16c
	;; [unrolled: 10-line block ×4, first 2 shown]
	v_fma_f64 v[11:12], v[5:6], v[13:14], -v[11:12]
	v_fma_f64 v[20:21], v[18:19], v[20:21], s[4:5]
	s_mov_b32 s4, 0x53fcdb4c
	s_mov_b32 s5, 0xbf83fda0
	v_add_f64 v[11:12], v[11:12], s[4:5]
	s_mov_b32 s4, 0xb55b1514
	s_mov_b32 s5, 0x3fe8ea18
	v_fma_f64 v[20:21], v[18:19], v[20:21], 1.0
	v_fma_f64 v[5:6], v[5:6], v[11:12], -v[13:14]
	v_fma_f64 v[11:12], v[18:19], v[20:21], 1.0
	v_add_f64 v[5:6], v[5:6], s[4:5]
	s_mov_b32 s4, 0
	s_mov_b32 s5, 0x40900000
	v_ldexp_f64 v[11:12], v[11:12], v16
	v_cmp_ngt_f64_e64 s[4:5], |v[7:8]|, s[4:5]
	v_mov_b32_e32 v16, 0x7ff00000
	v_add_f64 v[13:14], v[5:6], -v[13:14]
                                        ; implicit-def: $vgpr5_vgpr6
	v_cndmask_b32_e64 v12, v16, v12, s[4:5]
	v_cndmask_b32_e64 v11, 0, v11, s[4:5]
	s_and_saveexec_b64 s[4:5], vcc
	s_xor_b64 s[4:5], exec, s[4:5]
	s_cbranch_execz .LBB5_12
; %bb.11:
	s_mov_b32 s16, 0
	s_brev_b32 s17, 8
	v_cmp_lt_f64_e64 vcc, |v[7:8]|, s[16:17]
	v_mov_b32_e32 v5, 0x100
	v_mul_f64 v[13:14], v[13:14], 0.5
	v_cndmask_b32_e32 v5, 0, v5, vcc
	v_ldexp_f64 v[5:6], |v[7:8]|, v5
	v_mul_f64 v[11:12], v[11:12], v[13:14]
	v_rsq_f64_e32 v[7:8], v[5:6]
	v_mul_f64 v[16:17], v[5:6], v[7:8]
	v_mul_f64 v[7:8], v[7:8], 0.5
	v_fma_f64 v[18:19], -v[7:8], v[16:17], 0.5
	v_fma_f64 v[16:17], v[16:17], v[18:19], v[16:17]
	v_fma_f64 v[7:8], v[7:8], v[18:19], v[7:8]
	v_fma_f64 v[18:19], -v[16:17], v[16:17], v[5:6]
	v_fma_f64 v[16:17], v[18:19], v[7:8], v[16:17]
	v_fma_f64 v[18:19], -v[16:17], v[16:17], v[5:6]
	v_fma_f64 v[7:8], v[18:19], v[7:8], v[16:17]
	v_mov_b32_e32 v16, 0xffffff80
	v_mov_b32_e32 v17, 0x260
	v_cndmask_b32_e32 v16, 0, v16, vcc
	v_cmp_class_f64_e32 vcc, v[5:6], v17
	v_ldexp_f64 v[7:8], v[7:8], v16
	v_cndmask_b32_e32 v6, v8, v6, vcc
	v_cndmask_b32_e32 v5, v7, v5, vcc
	v_div_scale_f64 v[7:8], s[16:17], v[5:6], v[5:6], v[11:12]
	v_div_scale_f64 v[18:19], vcc, v[11:12], v[5:6], v[11:12]
	v_rcp_f64_e32 v[13:14], v[7:8]
	v_fma_f64 v[16:17], -v[7:8], v[13:14], 1.0
	v_fma_f64 v[13:14], v[13:14], v[16:17], v[13:14]
	v_fma_f64 v[16:17], -v[7:8], v[13:14], 1.0
	v_fma_f64 v[13:14], v[13:14], v[16:17], v[13:14]
	v_mul_f64 v[16:17], v[18:19], v[13:14]
	v_fma_f64 v[7:8], -v[7:8], v[16:17], v[18:19]
	v_div_fmas_f64 v[7:8], v[7:8], v[13:14], v[16:17]
                                        ; implicit-def: $vgpr13_vgpr14
	v_div_fixup_f64 v[5:6], v[7:8], v[5:6], v[11:12]
                                        ; implicit-def: $vgpr11_vgpr12
.LBB5_12:
	s_andn2_saveexec_b64 s[4:5], s[4:5]
	s_cbranch_execz .LBB5_14
; %bb.13:
	s_mov_b32 s16, 0
	s_brev_b32 s17, 8
	v_cmp_lt_f64_e64 vcc, |v[7:8]|, s[16:17]
	v_mov_b32_e32 v5, 0x100
	v_mul_f64 v[13:14], v[13:14], -0.5
	v_cndmask_b32_e32 v5, 0, v5, vcc
	v_ldexp_f64 v[5:6], |v[7:8]|, v5
	v_mul_f64 v[11:12], v[11:12], v[13:14]
	v_rsq_f64_e32 v[7:8], v[5:6]
	v_mul_f64 v[16:17], v[5:6], v[7:8]
	v_mul_f64 v[7:8], v[7:8], 0.5
	v_fma_f64 v[18:19], -v[7:8], v[16:17], 0.5
	v_fma_f64 v[16:17], v[16:17], v[18:19], v[16:17]
	v_fma_f64 v[7:8], v[7:8], v[18:19], v[7:8]
	v_fma_f64 v[18:19], -v[16:17], v[16:17], v[5:6]
	v_fma_f64 v[16:17], v[18:19], v[7:8], v[16:17]
	v_fma_f64 v[18:19], -v[16:17], v[16:17], v[5:6]
	v_fma_f64 v[7:8], v[18:19], v[7:8], v[16:17]
	v_mov_b32_e32 v16, 0xffffff80
	v_mov_b32_e32 v17, 0x260
	v_cndmask_b32_e32 v16, 0, v16, vcc
	v_cmp_class_f64_e32 vcc, v[5:6], v17
	v_ldexp_f64 v[7:8], v[7:8], v16
	v_cndmask_b32_e32 v6, v8, v6, vcc
	v_cndmask_b32_e32 v5, v7, v5, vcc
	v_div_scale_f64 v[7:8], s[16:17], v[5:6], v[5:6], v[11:12]
	v_div_scale_f64 v[18:19], vcc, v[11:12], v[5:6], v[11:12]
	v_rcp_f64_e32 v[13:14], v[7:8]
	v_fma_f64 v[16:17], -v[7:8], v[13:14], 1.0
	v_fma_f64 v[13:14], v[13:14], v[16:17], v[13:14]
	v_fma_f64 v[16:17], -v[7:8], v[13:14], 1.0
	v_fma_f64 v[13:14], v[13:14], v[16:17], v[13:14]
	v_mul_f64 v[16:17], v[18:19], v[13:14]
	v_fma_f64 v[7:8], -v[7:8], v[16:17], v[18:19]
	v_div_fmas_f64 v[7:8], v[7:8], v[13:14], v[16:17]
	v_div_fixup_f64 v[5:6], v[7:8], v[5:6], v[11:12]
.LBB5_14:
	s_or_b64 exec, exec, s[4:5]
.LBB5_15:
	s_or_b64 exec, exec, s[14:15]
	s_mov_b32 s4, 0
	s_mov_b32 s5, 0x40200000
	v_cmp_le_f64_e64 s[4:5], |v[9:10]|, s[4:5]
	s_and_saveexec_b64 s[14:15], s[4:5]
	s_xor_b64 s[4:5], exec, s[14:15]
	s_cbranch_execz .LBB5_21
; %bb.16:
	v_fma_f64 v[7:8], |v[9:10]|, 0.5, -2.0
	v_mov_b32_e32 v11, 0xc38a0576
	v_mov_b32_e32 v12, 0xbc7857d0
	s_mov_b32 s15, 0x3c499f2a
	s_mov_b32 s14, 0xc3c4014
	;; [unrolled: 1-line block ×4, first 2 shown]
	v_mov_b32_e32 v20, 0xfca7ab0c
	v_fma_f64 v[11:12], v[7:8], s[14:15], v[11:12]
	s_mov_b32 s15, 0xbc499f2a
	v_mov_b32_e32 v21, 0x3e928af3
	v_cmp_ngt_f64_e32 vcc, 0, v[9:10]
	v_fma_f64 v[13:14], v[7:8], v[11:12], s[14:15]
	s_mov_b32 s14, 0xe593bfac
	s_mov_b32 s15, 0x3ca663e3
	v_add_f64 v[13:14], v[13:14], s[14:15]
	s_mov_b32 s14, 0x7e0d1573
	s_mov_b32 s15, 0xbcd3eaaa
	v_fma_f64 v[11:12], v[7:8], v[13:14], -v[11:12]
	v_add_f64 v[11:12], v[11:12], s[14:15]
	s_mov_b32 s14, 0x615290c
	s_mov_b32 s15, 0x3d011d7f
	v_fma_f64 v[13:14], v[7:8], v[11:12], -v[13:14]
	;; [unrolled: 4-line block ×20, first 2 shown]
	v_add_f64 v[13:14], v[13:14], s[14:15]
	s_mov_b32 s14, 0x652b82fe
	s_mov_b32 s15, 0x3ff71547
	v_mul_f64 v[16:17], |v[9:10]|, s[14:15]
	s_mov_b32 s14, 0x7913a26a
	s_mov_b32 s15, 0xbf85a29f
	v_fma_f64 v[11:12], v[7:8], v[13:14], -v[11:12]
	v_rndne_f64_e32 v[16:17], v[16:17]
	v_add_f64 v[11:12], v[11:12], s[14:15]
	s_mov_b32 s14, 0xfefa39ef
	s_mov_b32 s15, 0xbfe62e42
	v_fma_f64 v[18:19], v[16:17], s[14:15], |v[9:10]|
	s_mov_b32 s14, 0xe7bb2349
	s_mov_b32 s15, 0x3f9951e3
	v_fma_f64 v[13:14], v[7:8], v[11:12], -v[13:14]
	v_fma_f64 v[18:19], v[16:17], s[16:17], v[18:19]
	s_mov_b32 s16, 0x623fde64
	s_mov_b32 s17, 0x3ec71dee
	v_cvt_i32_f64_e32 v16, v[16:17]
	v_add_f64 v[13:14], v[13:14], s[14:15]
	s_mov_b32 s14, 0x6a5dcb37
	s_mov_b32 s15, 0x3e5ade15
	v_fma_f64 v[20:21], v[18:19], s[14:15], v[20:21]
	s_mov_b32 s14, 0x537c9ebc
	s_mov_b32 s15, 0xbfab1bbc
	v_fma_f64 v[11:12], v[7:8], v[13:14], -v[11:12]
	v_fma_f64 v[20:21], v[18:19], v[20:21], s[16:17]
	s_mov_b32 s16, 0x14761f6e
	s_mov_b32 s17, 0x3f2a01a0
	v_add_f64 v[11:12], v[11:12], s[14:15]
	s_mov_b32 s14, 0x7c89e6b0
	s_mov_b32 s15, 0x3efa0199
	v_fma_f64 v[20:21], v[18:19], v[20:21], s[14:15]
	s_mov_b32 s14, 0xd536f53c
	s_mov_b32 s15, 0x3fba46da
	v_fma_f64 v[13:14], v[7:8], v[11:12], -v[13:14]
	v_fma_f64 v[20:21], v[18:19], v[20:21], s[16:17]
	s_mov_b32 s16, 0x11122322
	s_mov_b32 s17, 0x3f811111
	v_add_f64 v[13:14], v[13:14], s[14:15]
	s_mov_b32 s14, 0x1852b7b0
	s_mov_b32 s15, 0x3f56c16c
	v_fma_f64 v[20:21], v[18:19], v[20:21], s[14:15]
	s_mov_b32 s14, 0x469192e
	s_mov_b32 s15, 0xbfc694d1
	v_fma_f64 v[11:12], v[7:8], v[13:14], -v[11:12]
	v_fma_f64 v[20:21], v[18:19], v[20:21], s[16:17]
	s_mov_b32 s16, 0x55555511
	s_mov_b32 s17, 0x3fc55555
	v_add_f64 v[11:12], v[11:12], s[14:15]
	s_mov_b32 s14, 0x555502a1
	s_mov_b32 s15, 0x3fa55555
	v_fma_f64 v[7:8], v[7:8], v[11:12], -v[13:14]
	v_fma_f64 v[11:12], v[18:19], v[20:21], s[14:15]
	s_mov_b32 s14, 0x724a7ffa
	s_mov_b32 s15, 0x3fd02a63
	v_add_f64 v[7:8], v[7:8], s[14:15]
	v_fma_f64 v[11:12], v[18:19], v[11:12], s[16:17]
	s_mov_b32 s14, 11
	s_mov_b32 s15, 0x3fe00000
	v_add_f64 v[7:8], v[7:8], -v[13:14]
	v_fma_f64 v[11:12], v[18:19], v[11:12], s[14:15]
	v_mul_f64 v[7:8], v[7:8], 0.5
	v_fma_f64 v[13:14], v[18:19], v[11:12], 1.0
	v_mul_f64 v[11:12], |v[9:10]|, v[7:8]
	v_fma_f64 v[13:14], v[18:19], v[13:14], 1.0
	s_and_saveexec_b64 s[14:15], vcc
	s_xor_b64 s[14:15], exec, s[14:15]
	s_cbranch_execz .LBB5_18
; %bb.17:
	s_mov_b32 s16, 0
	s_mov_b32 s17, 0x40900000
	v_ldexp_f64 v[7:8], v[13:14], v16
	v_cmp_ngt_f64_e64 vcc, |v[9:10]|, s[16:17]
	v_mov_b32_e32 v13, 0x7ff00000
                                        ; implicit-def: $vgpr16
                                        ; implicit-def: $vgpr9_vgpr10
	v_cndmask_b32_e32 v8, v13, v8, vcc
	v_cndmask_b32_e32 v7, 0, v7, vcc
	v_mul_f64 v[7:8], v[7:8], v[11:12]
                                        ; implicit-def: $vgpr13_vgpr14
                                        ; implicit-def: $vgpr11_vgpr12
.LBB5_18:
	s_andn2_saveexec_b64 s[14:15], s[14:15]
	s_cbranch_execz .LBB5_20
; %bb.19:
	s_mov_b32 s16, 0
	s_mov_b32 s17, 0x40900000
	v_ldexp_f64 v[7:8], -v[13:14], v16
	v_cmp_ngt_f64_e64 vcc, |v[9:10]|, s[16:17]
	v_mov_b32_e32 v13, 0xfff00000
	v_cndmask_b32_e32 v8, v13, v8, vcc
	v_cndmask_b32_e32 v7, 0, v7, vcc
	v_mul_f64 v[7:8], v[7:8], v[11:12]
.LBB5_20:
	s_or_b64 exec, exec, s[14:15]
                                        ; implicit-def: $vgpr9_vgpr10
.LBB5_21:
	s_andn2_saveexec_b64 s[14:15], s[4:5]
	s_cbranch_execz .LBB5_27
; %bb.22:
	s_mov_b32 s4, 0
	v_and_b32_e32 v8, 0x7fffffff, v10
	v_mov_b32_e32 v7, v9
	s_mov_b32 s5, 0x40400000
	v_div_scale_f64 v[11:12], s[16:17], v[7:8], v[7:8], s[4:5]
	v_div_scale_f64 v[7:8], vcc, s[4:5], v[7:8], s[4:5]
	v_mov_b32_e32 v20, 0xfca7ab0c
	v_mov_b32_e32 v21, 0x3e928af3
	v_rcp_f64_e32 v[13:14], v[11:12]
	v_fma_f64 v[16:17], -v[11:12], v[13:14], 1.0
	v_fma_f64 v[13:14], v[13:14], v[16:17], v[13:14]
	v_fma_f64 v[16:17], -v[11:12], v[13:14], 1.0
	v_fma_f64 v[13:14], v[13:14], v[16:17], v[13:14]
	v_mul_f64 v[16:17], v[7:8], v[13:14]
	v_fma_f64 v[7:8], -v[11:12], v[16:17], v[7:8]
	v_mov_b32_e32 v11, 0xea87b950
	v_mov_b32_e32 v12, 0x3c545b8a
	v_div_fmas_f64 v[7:8], v[7:8], v[13:14], v[16:17]
	v_cmp_ngt_f64_e32 vcc, 0, v[9:10]
	v_div_fixup_f64 v[7:8], v[7:8], |v[9:10]|, s[4:5]
	s_mov_b32 s5, 0x3c61556d
	s_mov_b32 s4, 0xb352e8e6
	v_add_f64 v[7:8], v[7:8], -2.0
	v_fma_f64 v[11:12], v[7:8], s[4:5], v[11:12]
	s_mov_b32 s5, 0xbc61556d
	v_fma_f64 v[13:14], v[7:8], v[11:12], s[4:5]
	s_mov_b32 s4, 0xb2532277
	s_mov_b32 s5, 0xbc8acea3
	v_add_f64 v[13:14], v[13:14], s[4:5]
	s_mov_b32 s4, 0x9c773320
	s_mov_b32 s5, 0xbc82806c
	v_fma_f64 v[11:12], v[7:8], v[13:14], -v[11:12]
	v_add_f64 v[11:12], v[11:12], s[4:5]
	s_mov_b32 s4, 0xfceb588a
	s_mov_b32 s5, 0x3cb55915
	v_fma_f64 v[13:14], v[7:8], v[11:12], -v[13:14]
	;; [unrolled: 4-line block ×14, first 2 shown]
	v_add_f64 v[13:14], v[13:14], s[4:5]
	s_mov_b32 s4, 0x652b82fe
	s_mov_b32 s5, 0x3ff71547
	v_mul_f64 v[16:17], |v[9:10]|, s[4:5]
	s_mov_b32 s4, 0x5423dd80
	s_mov_b32 s5, 0xbe0334ca
	v_fma_f64 v[11:12], v[7:8], v[13:14], -v[11:12]
	v_rndne_f64_e32 v[16:17], v[16:17]
	v_add_f64 v[11:12], v[11:12], s[4:5]
	s_mov_b32 s4, 0xfefa39ef
	s_mov_b32 s5, 0xbfe62e42
	v_fma_f64 v[18:19], v[16:17], s[4:5], |v[9:10]|
	s_mov_b32 s4, 0x9ad53528
	s_mov_b32 s5, 0xbe30790b
	v_fma_f64 v[13:14], v[7:8], v[11:12], -v[13:14]
	v_add_f64 v[13:14], v[13:14], s[4:5]
	s_mov_b32 s4, 0x3b39803f
	s_mov_b32 s5, 0xbc7abc9e
	v_fma_f64 v[18:19], v[16:17], s[4:5], v[18:19]
	s_mov_b32 s4, 0x6a5dcb37
	s_mov_b32 s5, 0x3e5ade15
	v_cvt_i32_f64_e32 v16, v[16:17]
	v_fma_f64 v[11:12], v[7:8], v[13:14], -v[11:12]
	v_fma_f64 v[20:21], v[18:19], s[4:5], v[20:21]
	s_mov_b32 s4, 0x94bb46c1
	s_mov_b32 s5, 0xbe5c4153
	v_add_f64 v[11:12], v[11:12], s[4:5]
	s_mov_b32 s4, 0x623fde64
	s_mov_b32 s5, 0x3ec71dee
	v_fma_f64 v[20:21], v[18:19], v[20:21], s[4:5]
	s_mov_b32 s4, 0x7c89e6b0
	s_mov_b32 s5, 0x3efa0199
	v_fma_f64 v[13:14], v[7:8], v[11:12], -v[13:14]
	v_fma_f64 v[20:21], v[18:19], v[20:21], s[4:5]
	s_mov_b32 s4, 0x2e9e5443
	s_mov_b32 s5, 0xbe90dbfd
	v_add_f64 v[13:14], v[13:14], s[4:5]
	s_mov_b32 s4, 0x14761f6e
	s_mov_b32 s5, 0x3f2a01a0
	v_fma_f64 v[20:21], v[18:19], v[20:21], s[4:5]
	s_mov_b32 s4, 0x1852b7b0
	s_mov_b32 s5, 0x3f56c16c
	;; [unrolled: 10-line block ×4, first 2 shown]
	v_fma_f64 v[11:12], v[7:8], v[13:14], -v[11:12]
	v_fma_f64 v[20:21], v[18:19], v[20:21], s[4:5]
	s_mov_b32 s4, 0x53fcdb4c
	s_mov_b32 s5, 0xbf83fda0
	v_add_f64 v[11:12], v[11:12], s[4:5]
	s_mov_b32 s4, 0xb55b1514
	s_mov_b32 s5, 0x3fe8ea18
	v_fma_f64 v[20:21], v[18:19], v[20:21], 1.0
	v_fma_f64 v[7:8], v[7:8], v[11:12], -v[13:14]
	v_fma_f64 v[11:12], v[18:19], v[20:21], 1.0
	v_add_f64 v[7:8], v[7:8], s[4:5]
	s_mov_b32 s4, 0
	s_mov_b32 s5, 0x40900000
	v_ldexp_f64 v[11:12], v[11:12], v16
	v_cmp_ngt_f64_e64 s[4:5], |v[9:10]|, s[4:5]
	v_mov_b32_e32 v16, 0x7ff00000
	v_add_f64 v[13:14], v[7:8], -v[13:14]
	v_cndmask_b32_e64 v12, v16, v12, s[4:5]
	v_cndmask_b32_e64 v11, 0, v11, s[4:5]
	s_and_saveexec_b64 s[4:5], vcc
	s_xor_b64 s[4:5], exec, s[4:5]
	s_cbranch_execz .LBB5_24
; %bb.23:
	s_mov_b32 s16, 0
	s_brev_b32 s17, 8
	v_cmp_lt_f64_e64 vcc, |v[9:10]|, s[16:17]
	v_mov_b32_e32 v7, 0x100
	v_mul_f64 v[13:14], v[13:14], 0.5
	v_cndmask_b32_e32 v7, 0, v7, vcc
	v_ldexp_f64 v[7:8], |v[9:10]|, v7
	v_mul_f64 v[11:12], v[11:12], v[13:14]
	v_rsq_f64_e32 v[9:10], v[7:8]
	v_mul_f64 v[16:17], v[7:8], v[9:10]
	v_mul_f64 v[9:10], v[9:10], 0.5
	v_fma_f64 v[18:19], -v[9:10], v[16:17], 0.5
	v_fma_f64 v[16:17], v[16:17], v[18:19], v[16:17]
	v_fma_f64 v[9:10], v[9:10], v[18:19], v[9:10]
	v_fma_f64 v[18:19], -v[16:17], v[16:17], v[7:8]
	v_fma_f64 v[16:17], v[18:19], v[9:10], v[16:17]
	v_fma_f64 v[18:19], -v[16:17], v[16:17], v[7:8]
	v_fma_f64 v[9:10], v[18:19], v[9:10], v[16:17]
	v_mov_b32_e32 v16, 0xffffff80
	v_mov_b32_e32 v17, 0x260
	v_cndmask_b32_e32 v16, 0, v16, vcc
	v_cmp_class_f64_e32 vcc, v[7:8], v17
	v_ldexp_f64 v[9:10], v[9:10], v16
	v_cndmask_b32_e32 v8, v10, v8, vcc
	v_cndmask_b32_e32 v7, v9, v7, vcc
	v_div_scale_f64 v[9:10], s[16:17], v[7:8], v[7:8], v[11:12]
	v_div_scale_f64 v[18:19], vcc, v[11:12], v[7:8], v[11:12]
	v_rcp_f64_e32 v[13:14], v[9:10]
	v_fma_f64 v[16:17], -v[9:10], v[13:14], 1.0
	v_fma_f64 v[13:14], v[13:14], v[16:17], v[13:14]
	v_fma_f64 v[16:17], -v[9:10], v[13:14], 1.0
	v_fma_f64 v[13:14], v[13:14], v[16:17], v[13:14]
	v_mul_f64 v[16:17], v[18:19], v[13:14]
	v_fma_f64 v[9:10], -v[9:10], v[16:17], v[18:19]
	v_div_fmas_f64 v[9:10], v[9:10], v[13:14], v[16:17]
                                        ; implicit-def: $vgpr13_vgpr14
	v_div_fixup_f64 v[7:8], v[9:10], v[7:8], v[11:12]
                                        ; implicit-def: $vgpr9_vgpr10
                                        ; implicit-def: $vgpr11_vgpr12
.LBB5_24:
	s_andn2_saveexec_b64 s[4:5], s[4:5]
	s_cbranch_execz .LBB5_26
; %bb.25:
	s_mov_b32 s16, 0
	s_brev_b32 s17, 8
	v_cmp_lt_f64_e64 vcc, |v[9:10]|, s[16:17]
	v_mov_b32_e32 v7, 0x100
	v_mul_f64 v[13:14], v[13:14], -0.5
	v_cndmask_b32_e32 v7, 0, v7, vcc
	v_ldexp_f64 v[7:8], |v[9:10]|, v7
	v_mul_f64 v[11:12], v[11:12], v[13:14]
	v_rsq_f64_e32 v[9:10], v[7:8]
	v_mul_f64 v[16:17], v[7:8], v[9:10]
	v_mul_f64 v[9:10], v[9:10], 0.5
	v_fma_f64 v[18:19], -v[9:10], v[16:17], 0.5
	v_fma_f64 v[16:17], v[16:17], v[18:19], v[16:17]
	v_fma_f64 v[9:10], v[9:10], v[18:19], v[9:10]
	v_fma_f64 v[18:19], -v[16:17], v[16:17], v[7:8]
	v_fma_f64 v[16:17], v[18:19], v[9:10], v[16:17]
	v_fma_f64 v[18:19], -v[16:17], v[16:17], v[7:8]
	v_fma_f64 v[9:10], v[18:19], v[9:10], v[16:17]
	v_mov_b32_e32 v16, 0xffffff80
	v_mov_b32_e32 v17, 0x260
	v_cndmask_b32_e32 v16, 0, v16, vcc
	v_cmp_class_f64_e32 vcc, v[7:8], v17
	v_ldexp_f64 v[9:10], v[9:10], v16
	v_cndmask_b32_e32 v8, v10, v8, vcc
	v_cndmask_b32_e32 v7, v9, v7, vcc
	v_div_scale_f64 v[9:10], s[16:17], v[7:8], v[7:8], v[11:12]
	v_div_scale_f64 v[18:19], vcc, v[11:12], v[7:8], v[11:12]
	v_rcp_f64_e32 v[13:14], v[9:10]
	v_fma_f64 v[16:17], -v[9:10], v[13:14], 1.0
	v_fma_f64 v[13:14], v[13:14], v[16:17], v[13:14]
	v_fma_f64 v[16:17], -v[9:10], v[13:14], 1.0
	v_fma_f64 v[13:14], v[13:14], v[16:17], v[13:14]
	v_mul_f64 v[16:17], v[18:19], v[13:14]
	v_fma_f64 v[9:10], -v[9:10], v[16:17], v[18:19]
	v_div_fmas_f64 v[9:10], v[9:10], v[13:14], v[16:17]
	v_div_fixup_f64 v[7:8], v[9:10], v[7:8], v[11:12]
.LBB5_26:
	s_or_b64 exec, exec, s[4:5]
.LBB5_27:
	s_or_b64 exec, exec, s[14:15]
	s_mov_b32 s4, 0
	s_mov_b32 s5, 0x40200000
	s_waitcnt vmcnt(0)
	v_cmp_le_f64_e64 s[4:5], |v[1:2]|, s[4:5]
                                        ; implicit-def: $vgpr9_vgpr10
	s_and_saveexec_b64 s[14:15], s[4:5]
	s_xor_b64 s[4:5], exec, s[14:15]
	s_cbranch_execz .LBB5_33
; %bb.28:
	v_fma_f64 v[9:10], |v[1:2]|, 0.5, -2.0
	v_mov_b32_e32 v11, 0xc38a0576
	v_mov_b32_e32 v12, 0xbc7857d0
	s_mov_b32 s15, 0x3c499f2a
	s_mov_b32 s14, 0xc3c4014
	;; [unrolled: 1-line block ×4, first 2 shown]
	v_mov_b32_e32 v20, 0xfca7ab0c
	v_fma_f64 v[11:12], v[9:10], s[14:15], v[11:12]
	s_mov_b32 s15, 0xbc499f2a
	v_mov_b32_e32 v21, 0x3e928af3
	v_cmp_ngt_f64_e32 vcc, 0, v[1:2]
	v_fma_f64 v[13:14], v[9:10], v[11:12], s[14:15]
	s_mov_b32 s14, 0xe593bfac
	s_mov_b32 s15, 0x3ca663e3
	v_add_f64 v[13:14], v[13:14], s[14:15]
	s_mov_b32 s14, 0x7e0d1573
	s_mov_b32 s15, 0xbcd3eaaa
	v_fma_f64 v[11:12], v[9:10], v[13:14], -v[11:12]
	v_add_f64 v[11:12], v[11:12], s[14:15]
	s_mov_b32 s14, 0x615290c
	s_mov_b32 s15, 0x3d011d7f
	v_fma_f64 v[13:14], v[9:10], v[11:12], -v[13:14]
	;; [unrolled: 4-line block ×20, first 2 shown]
	v_add_f64 v[13:14], v[13:14], s[14:15]
	s_mov_b32 s14, 0x652b82fe
	s_mov_b32 s15, 0x3ff71547
	v_mul_f64 v[16:17], |v[1:2]|, s[14:15]
	s_mov_b32 s14, 0x7913a26a
	s_mov_b32 s15, 0xbf85a29f
	v_fma_f64 v[11:12], v[9:10], v[13:14], -v[11:12]
	v_rndne_f64_e32 v[16:17], v[16:17]
	v_add_f64 v[11:12], v[11:12], s[14:15]
	s_mov_b32 s14, 0xfefa39ef
	s_mov_b32 s15, 0xbfe62e42
	v_fma_f64 v[18:19], v[16:17], s[14:15], |v[1:2]|
	s_mov_b32 s14, 0xe7bb2349
	s_mov_b32 s15, 0x3f9951e3
	v_fma_f64 v[13:14], v[9:10], v[11:12], -v[13:14]
	v_fma_f64 v[18:19], v[16:17], s[16:17], v[18:19]
	s_mov_b32 s16, 0x623fde64
	s_mov_b32 s17, 0x3ec71dee
	v_cvt_i32_f64_e32 v16, v[16:17]
	v_add_f64 v[13:14], v[13:14], s[14:15]
	s_mov_b32 s14, 0x6a5dcb37
	s_mov_b32 s15, 0x3e5ade15
	v_fma_f64 v[20:21], v[18:19], s[14:15], v[20:21]
	s_mov_b32 s14, 0x537c9ebc
	s_mov_b32 s15, 0xbfab1bbc
	v_fma_f64 v[11:12], v[9:10], v[13:14], -v[11:12]
	v_fma_f64 v[20:21], v[18:19], v[20:21], s[16:17]
	s_mov_b32 s16, 0x14761f6e
	s_mov_b32 s17, 0x3f2a01a0
	v_add_f64 v[11:12], v[11:12], s[14:15]
	s_mov_b32 s14, 0x7c89e6b0
	s_mov_b32 s15, 0x3efa0199
	v_fma_f64 v[20:21], v[18:19], v[20:21], s[14:15]
	s_mov_b32 s14, 0xd536f53c
	s_mov_b32 s15, 0x3fba46da
	v_fma_f64 v[13:14], v[9:10], v[11:12], -v[13:14]
	v_fma_f64 v[20:21], v[18:19], v[20:21], s[16:17]
	s_mov_b32 s16, 0x11122322
	s_mov_b32 s17, 0x3f811111
	;; [unrolled: 10-line block ×3, first 2 shown]
	v_add_f64 v[11:12], v[11:12], s[14:15]
	s_mov_b32 s14, 0x555502a1
	s_mov_b32 s15, 0x3fa55555
	v_fma_f64 v[9:10], v[9:10], v[11:12], -v[13:14]
	v_fma_f64 v[11:12], v[18:19], v[20:21], s[14:15]
	s_mov_b32 s14, 0x724a7ffa
	s_mov_b32 s15, 0x3fd02a63
	v_add_f64 v[9:10], v[9:10], s[14:15]
	v_fma_f64 v[11:12], v[18:19], v[11:12], s[16:17]
	s_mov_b32 s14, 11
	s_mov_b32 s15, 0x3fe00000
	v_add_f64 v[9:10], v[9:10], -v[13:14]
	v_fma_f64 v[11:12], v[18:19], v[11:12], s[14:15]
	v_mul_f64 v[9:10], v[9:10], 0.5
	v_fma_f64 v[13:14], v[18:19], v[11:12], 1.0
	v_mul_f64 v[11:12], |v[1:2]|, v[9:10]
	v_fma_f64 v[13:14], v[18:19], v[13:14], 1.0
                                        ; implicit-def: $vgpr9_vgpr10
	s_and_saveexec_b64 s[14:15], vcc
	s_xor_b64 s[14:15], exec, s[14:15]
	s_cbranch_execz .LBB5_30
; %bb.29:
	s_mov_b32 s16, 0
	s_mov_b32 s17, 0x40900000
	v_ldexp_f64 v[9:10], v[13:14], v16
	v_cmp_ngt_f64_e64 vcc, |v[1:2]|, s[16:17]
	v_mov_b32_e32 v13, 0x7ff00000
                                        ; implicit-def: $vgpr16
	v_cndmask_b32_e32 v2, v13, v10, vcc
	v_cndmask_b32_e32 v1, 0, v9, vcc
	v_mul_f64 v[9:10], v[1:2], v[11:12]
                                        ; implicit-def: $vgpr13_vgpr14
                                        ; implicit-def: $vgpr11_vgpr12
.LBB5_30:
	s_andn2_saveexec_b64 s[14:15], s[14:15]
	s_cbranch_execz .LBB5_32
; %bb.31:
	s_mov_b32 s16, 0
	s_mov_b32 s17, 0x40900000
	v_ldexp_f64 v[9:10], -v[13:14], v16
	v_cmp_ngt_f64_e64 vcc, |v[1:2]|, s[16:17]
	v_mov_b32_e32 v13, 0xfff00000
	v_cndmask_b32_e32 v2, v13, v10, vcc
	v_cndmask_b32_e32 v1, 0, v9, vcc
	v_mul_f64 v[9:10], v[1:2], v[11:12]
.LBB5_32:
	s_or_b64 exec, exec, s[14:15]
.LBB5_33:
	s_andn2_saveexec_b64 s[14:15], s[4:5]
	s_cbranch_execz .LBB5_39
; %bb.34:
	s_mov_b32 s4, 0
	v_and_b32_e32 v10, 0x7fffffff, v2
	v_mov_b32_e32 v9, v1
	s_mov_b32 s5, 0x40400000
	v_div_scale_f64 v[11:12], s[16:17], v[9:10], v[9:10], s[4:5]
	v_div_scale_f64 v[9:10], vcc, s[4:5], v[9:10], s[4:5]
	v_mov_b32_e32 v20, 0xfca7ab0c
	v_mov_b32_e32 v21, 0x3e928af3
	v_rcp_f64_e32 v[13:14], v[11:12]
	v_fma_f64 v[16:17], -v[11:12], v[13:14], 1.0
	v_fma_f64 v[13:14], v[13:14], v[16:17], v[13:14]
	v_fma_f64 v[16:17], -v[11:12], v[13:14], 1.0
	v_fma_f64 v[13:14], v[13:14], v[16:17], v[13:14]
	v_mul_f64 v[16:17], v[9:10], v[13:14]
	v_fma_f64 v[9:10], -v[11:12], v[16:17], v[9:10]
	v_mov_b32_e32 v11, 0xea87b950
	v_mov_b32_e32 v12, 0x3c545b8a
	v_div_fmas_f64 v[9:10], v[9:10], v[13:14], v[16:17]
	v_cmp_ngt_f64_e32 vcc, 0, v[1:2]
	v_div_fixup_f64 v[9:10], v[9:10], |v[1:2]|, s[4:5]
	s_mov_b32 s5, 0x3c61556d
	s_mov_b32 s4, 0xb352e8e6
	v_add_f64 v[9:10], v[9:10], -2.0
	v_fma_f64 v[11:12], v[9:10], s[4:5], v[11:12]
	s_mov_b32 s5, 0xbc61556d
	v_fma_f64 v[13:14], v[9:10], v[11:12], s[4:5]
	s_mov_b32 s4, 0xb2532277
	s_mov_b32 s5, 0xbc8acea3
	v_add_f64 v[13:14], v[13:14], s[4:5]
	s_mov_b32 s4, 0x9c773320
	s_mov_b32 s5, 0xbc82806c
	v_fma_f64 v[11:12], v[9:10], v[13:14], -v[11:12]
	v_add_f64 v[11:12], v[11:12], s[4:5]
	s_mov_b32 s4, 0xfceb588a
	s_mov_b32 s5, 0x3cb55915
	v_fma_f64 v[13:14], v[9:10], v[11:12], -v[13:14]
	;; [unrolled: 4-line block ×14, first 2 shown]
	v_add_f64 v[13:14], v[13:14], s[4:5]
	s_mov_b32 s4, 0x652b82fe
	s_mov_b32 s5, 0x3ff71547
	v_mul_f64 v[16:17], |v[1:2]|, s[4:5]
	s_mov_b32 s4, 0x5423dd80
	s_mov_b32 s5, 0xbe0334ca
	v_fma_f64 v[11:12], v[9:10], v[13:14], -v[11:12]
	v_rndne_f64_e32 v[16:17], v[16:17]
	v_add_f64 v[11:12], v[11:12], s[4:5]
	s_mov_b32 s4, 0xfefa39ef
	s_mov_b32 s5, 0xbfe62e42
	v_fma_f64 v[18:19], v[16:17], s[4:5], |v[1:2]|
	s_mov_b32 s4, 0x9ad53528
	s_mov_b32 s5, 0xbe30790b
	v_fma_f64 v[13:14], v[9:10], v[11:12], -v[13:14]
	v_add_f64 v[13:14], v[13:14], s[4:5]
	s_mov_b32 s4, 0x3b39803f
	s_mov_b32 s5, 0xbc7abc9e
	v_fma_f64 v[18:19], v[16:17], s[4:5], v[18:19]
	s_mov_b32 s4, 0x6a5dcb37
	s_mov_b32 s5, 0x3e5ade15
	v_cvt_i32_f64_e32 v16, v[16:17]
	v_fma_f64 v[11:12], v[9:10], v[13:14], -v[11:12]
	v_fma_f64 v[20:21], v[18:19], s[4:5], v[20:21]
	s_mov_b32 s4, 0x94bb46c1
	s_mov_b32 s5, 0xbe5c4153
	v_add_f64 v[11:12], v[11:12], s[4:5]
	s_mov_b32 s4, 0x623fde64
	s_mov_b32 s5, 0x3ec71dee
	v_fma_f64 v[20:21], v[18:19], v[20:21], s[4:5]
	s_mov_b32 s4, 0x7c89e6b0
	s_mov_b32 s5, 0x3efa0199
	v_fma_f64 v[13:14], v[9:10], v[11:12], -v[13:14]
	v_fma_f64 v[20:21], v[18:19], v[20:21], s[4:5]
	s_mov_b32 s4, 0x2e9e5443
	s_mov_b32 s5, 0xbe90dbfd
	v_add_f64 v[13:14], v[13:14], s[4:5]
	s_mov_b32 s4, 0x14761f6e
	s_mov_b32 s5, 0x3f2a01a0
	v_fma_f64 v[20:21], v[18:19], v[20:21], s[4:5]
	s_mov_b32 s4, 0x1852b7b0
	s_mov_b32 s5, 0x3f56c16c
	;; [unrolled: 10-line block ×4, first 2 shown]
	v_fma_f64 v[11:12], v[9:10], v[13:14], -v[11:12]
	v_fma_f64 v[20:21], v[18:19], v[20:21], s[4:5]
	s_mov_b32 s4, 0x53fcdb4c
	s_mov_b32 s5, 0xbf83fda0
	v_add_f64 v[11:12], v[11:12], s[4:5]
	s_mov_b32 s4, 0xb55b1514
	s_mov_b32 s5, 0x3fe8ea18
	v_fma_f64 v[20:21], v[18:19], v[20:21], 1.0
	v_fma_f64 v[9:10], v[9:10], v[11:12], -v[13:14]
	v_fma_f64 v[11:12], v[18:19], v[20:21], 1.0
	v_add_f64 v[9:10], v[9:10], s[4:5]
	s_mov_b32 s4, 0
	s_mov_b32 s5, 0x40900000
	v_ldexp_f64 v[11:12], v[11:12], v16
	v_cmp_ngt_f64_e64 s[4:5], |v[1:2]|, s[4:5]
	v_mov_b32_e32 v16, 0x7ff00000
	v_add_f64 v[13:14], v[9:10], -v[13:14]
                                        ; implicit-def: $vgpr9_vgpr10
	v_cndmask_b32_e64 v12, v16, v12, s[4:5]
	v_cndmask_b32_e64 v11, 0, v11, s[4:5]
	s_and_saveexec_b64 s[4:5], vcc
	s_xor_b64 s[4:5], exec, s[4:5]
	s_cbranch_execz .LBB5_36
; %bb.35:
	s_mov_b32 s16, 0
	s_brev_b32 s17, 8
	v_cmp_lt_f64_e64 vcc, |v[1:2]|, s[16:17]
	v_mov_b32_e32 v9, 0x100
	v_mul_f64 v[13:14], v[13:14], 0.5
	v_cndmask_b32_e32 v9, 0, v9, vcc
	v_ldexp_f64 v[1:2], |v[1:2]|, v9
	v_mul_f64 v[11:12], v[11:12], v[13:14]
	v_rsq_f64_e32 v[9:10], v[1:2]
	v_mul_f64 v[16:17], v[1:2], v[9:10]
	v_mul_f64 v[9:10], v[9:10], 0.5
	v_fma_f64 v[18:19], -v[9:10], v[16:17], 0.5
	v_fma_f64 v[16:17], v[16:17], v[18:19], v[16:17]
	v_fma_f64 v[9:10], v[9:10], v[18:19], v[9:10]
	v_fma_f64 v[18:19], -v[16:17], v[16:17], v[1:2]
	v_fma_f64 v[16:17], v[18:19], v[9:10], v[16:17]
	v_fma_f64 v[18:19], -v[16:17], v[16:17], v[1:2]
	v_fma_f64 v[9:10], v[18:19], v[9:10], v[16:17]
	v_mov_b32_e32 v16, 0xffffff80
	v_mov_b32_e32 v17, 0x260
	v_cndmask_b32_e32 v16, 0, v16, vcc
	v_cmp_class_f64_e32 vcc, v[1:2], v17
	v_ldexp_f64 v[9:10], v[9:10], v16
	v_cndmask_b32_e32 v2, v10, v2, vcc
	v_cndmask_b32_e32 v1, v9, v1, vcc
	v_div_scale_f64 v[9:10], s[16:17], v[1:2], v[1:2], v[11:12]
	v_div_scale_f64 v[18:19], vcc, v[11:12], v[1:2], v[11:12]
	v_rcp_f64_e32 v[13:14], v[9:10]
	v_fma_f64 v[16:17], -v[9:10], v[13:14], 1.0
	v_fma_f64 v[13:14], v[13:14], v[16:17], v[13:14]
	v_fma_f64 v[16:17], -v[9:10], v[13:14], 1.0
	v_fma_f64 v[13:14], v[13:14], v[16:17], v[13:14]
	v_mul_f64 v[16:17], v[18:19], v[13:14]
	v_fma_f64 v[9:10], -v[9:10], v[16:17], v[18:19]
	v_div_fmas_f64 v[9:10], v[9:10], v[13:14], v[16:17]
                                        ; implicit-def: $vgpr13_vgpr14
	v_div_fixup_f64 v[9:10], v[9:10], v[1:2], v[11:12]
                                        ; implicit-def: $vgpr11_vgpr12
.LBB5_36:
	s_andn2_saveexec_b64 s[4:5], s[4:5]
	s_cbranch_execz .LBB5_38
; %bb.37:
	s_mov_b32 s16, 0
	s_brev_b32 s17, 8
	v_cmp_lt_f64_e64 vcc, |v[1:2]|, s[16:17]
	v_mov_b32_e32 v9, 0x100
	v_mul_f64 v[13:14], v[13:14], -0.5
	v_cndmask_b32_e32 v9, 0, v9, vcc
	v_ldexp_f64 v[1:2], |v[1:2]|, v9
	v_mul_f64 v[11:12], v[11:12], v[13:14]
	v_rsq_f64_e32 v[9:10], v[1:2]
	v_mul_f64 v[16:17], v[1:2], v[9:10]
	v_mul_f64 v[9:10], v[9:10], 0.5
	v_fma_f64 v[18:19], -v[9:10], v[16:17], 0.5
	v_fma_f64 v[16:17], v[16:17], v[18:19], v[16:17]
	v_fma_f64 v[9:10], v[9:10], v[18:19], v[9:10]
	v_fma_f64 v[18:19], -v[16:17], v[16:17], v[1:2]
	v_fma_f64 v[16:17], v[18:19], v[9:10], v[16:17]
	v_fma_f64 v[18:19], -v[16:17], v[16:17], v[1:2]
	v_fma_f64 v[9:10], v[18:19], v[9:10], v[16:17]
	v_mov_b32_e32 v16, 0xffffff80
	v_mov_b32_e32 v17, 0x260
	v_cndmask_b32_e32 v16, 0, v16, vcc
	v_cmp_class_f64_e32 vcc, v[1:2], v17
	v_ldexp_f64 v[9:10], v[9:10], v16
	v_cndmask_b32_e32 v2, v10, v2, vcc
	v_cndmask_b32_e32 v1, v9, v1, vcc
	v_div_scale_f64 v[9:10], s[16:17], v[1:2], v[1:2], v[11:12]
	v_div_scale_f64 v[18:19], vcc, v[11:12], v[1:2], v[11:12]
	v_rcp_f64_e32 v[13:14], v[9:10]
	v_fma_f64 v[16:17], -v[9:10], v[13:14], 1.0
	v_fma_f64 v[13:14], v[13:14], v[16:17], v[13:14]
	v_fma_f64 v[16:17], -v[9:10], v[13:14], 1.0
	v_fma_f64 v[13:14], v[13:14], v[16:17], v[13:14]
	v_mul_f64 v[16:17], v[18:19], v[13:14]
	v_fma_f64 v[9:10], -v[9:10], v[16:17], v[18:19]
	v_div_fmas_f64 v[9:10], v[9:10], v[13:14], v[16:17]
	v_div_fixup_f64 v[9:10], v[9:10], v[1:2], v[11:12]
.LBB5_38:
	s_or_b64 exec, exec, s[4:5]
.LBB5_39:
	s_or_b64 exec, exec, s[14:15]
	s_mov_b32 s4, 0
	s_mov_b32 s5, 0x40200000
	v_cmp_le_f64_e64 s[4:5], |v[3:4]|, s[4:5]
	s_and_saveexec_b64 s[14:15], s[4:5]
	s_xor_b64 s[4:5], exec, s[14:15]
	s_cbranch_execz .LBB5_45
; %bb.40:
	v_fma_f64 v[1:2], |v[3:4]|, 0.5, -2.0
	v_mov_b32_e32 v11, 0xc38a0576
	v_mov_b32_e32 v12, 0xbc7857d0
	s_mov_b32 s15, 0x3c499f2a
	s_mov_b32 s14, 0xc3c4014
	;; [unrolled: 1-line block ×4, first 2 shown]
	v_mov_b32_e32 v20, 0xfca7ab0c
	v_fma_f64 v[11:12], v[1:2], s[14:15], v[11:12]
	s_mov_b32 s15, 0xbc499f2a
	v_mov_b32_e32 v21, 0x3e928af3
	v_cmp_ngt_f64_e32 vcc, 0, v[3:4]
	v_fma_f64 v[13:14], v[1:2], v[11:12], s[14:15]
	s_mov_b32 s14, 0xe593bfac
	s_mov_b32 s15, 0x3ca663e3
	v_add_f64 v[13:14], v[13:14], s[14:15]
	s_mov_b32 s14, 0x7e0d1573
	s_mov_b32 s15, 0xbcd3eaaa
	v_fma_f64 v[11:12], v[1:2], v[13:14], -v[11:12]
	v_add_f64 v[11:12], v[11:12], s[14:15]
	s_mov_b32 s14, 0x615290c
	s_mov_b32 s15, 0x3d011d7f
	v_fma_f64 v[13:14], v[1:2], v[11:12], -v[13:14]
	;; [unrolled: 4-line block ×20, first 2 shown]
	v_add_f64 v[13:14], v[13:14], s[14:15]
	s_mov_b32 s14, 0x652b82fe
	s_mov_b32 s15, 0x3ff71547
	v_mul_f64 v[16:17], |v[3:4]|, s[14:15]
	s_mov_b32 s14, 0x7913a26a
	s_mov_b32 s15, 0xbf85a29f
	v_fma_f64 v[11:12], v[1:2], v[13:14], -v[11:12]
	v_rndne_f64_e32 v[16:17], v[16:17]
	v_add_f64 v[11:12], v[11:12], s[14:15]
	s_mov_b32 s14, 0xfefa39ef
	s_mov_b32 s15, 0xbfe62e42
	v_fma_f64 v[18:19], v[16:17], s[14:15], |v[3:4]|
	s_mov_b32 s14, 0xe7bb2349
	s_mov_b32 s15, 0x3f9951e3
	v_fma_f64 v[13:14], v[1:2], v[11:12], -v[13:14]
	v_fma_f64 v[18:19], v[16:17], s[16:17], v[18:19]
	s_mov_b32 s16, 0x623fde64
	s_mov_b32 s17, 0x3ec71dee
	v_cvt_i32_f64_e32 v16, v[16:17]
	v_add_f64 v[13:14], v[13:14], s[14:15]
	s_mov_b32 s14, 0x6a5dcb37
	s_mov_b32 s15, 0x3e5ade15
	v_fma_f64 v[20:21], v[18:19], s[14:15], v[20:21]
	s_mov_b32 s14, 0x537c9ebc
	s_mov_b32 s15, 0xbfab1bbc
	v_fma_f64 v[11:12], v[1:2], v[13:14], -v[11:12]
	v_fma_f64 v[20:21], v[18:19], v[20:21], s[16:17]
	s_mov_b32 s16, 0x14761f6e
	s_mov_b32 s17, 0x3f2a01a0
	v_add_f64 v[11:12], v[11:12], s[14:15]
	s_mov_b32 s14, 0x7c89e6b0
	s_mov_b32 s15, 0x3efa0199
	v_fma_f64 v[20:21], v[18:19], v[20:21], s[14:15]
	s_mov_b32 s14, 0xd536f53c
	s_mov_b32 s15, 0x3fba46da
	v_fma_f64 v[13:14], v[1:2], v[11:12], -v[13:14]
	v_fma_f64 v[20:21], v[18:19], v[20:21], s[16:17]
	s_mov_b32 s16, 0x11122322
	s_mov_b32 s17, 0x3f811111
	;; [unrolled: 10-line block ×3, first 2 shown]
	v_add_f64 v[11:12], v[11:12], s[14:15]
	s_mov_b32 s14, 0x555502a1
	s_mov_b32 s15, 0x3fa55555
	v_fma_f64 v[1:2], v[1:2], v[11:12], -v[13:14]
	v_fma_f64 v[11:12], v[18:19], v[20:21], s[14:15]
	s_mov_b32 s14, 0x724a7ffa
	s_mov_b32 s15, 0x3fd02a63
	v_add_f64 v[1:2], v[1:2], s[14:15]
	v_fma_f64 v[11:12], v[18:19], v[11:12], s[16:17]
	s_mov_b32 s14, 11
	s_mov_b32 s15, 0x3fe00000
	v_add_f64 v[1:2], v[1:2], -v[13:14]
	v_fma_f64 v[11:12], v[18:19], v[11:12], s[14:15]
	v_mul_f64 v[1:2], v[1:2], 0.5
	v_fma_f64 v[11:12], v[18:19], v[11:12], 1.0
	v_mul_f64 v[1:2], |v[3:4]|, v[1:2]
	v_fma_f64 v[13:14], v[18:19], v[11:12], 1.0
	s_and_saveexec_b64 s[14:15], vcc
	s_xor_b64 s[14:15], exec, s[14:15]
	s_cbranch_execz .LBB5_42
; %bb.41:
	s_mov_b32 s16, 0
	s_mov_b32 s17, 0x40900000
	v_ldexp_f64 v[11:12], v[13:14], v16
	v_cmp_ngt_f64_e64 vcc, |v[3:4]|, s[16:17]
	v_mov_b32_e32 v13, 0x7ff00000
                                        ; implicit-def: $vgpr16
	v_cndmask_b32_e32 v4, v13, v12, vcc
	v_cndmask_b32_e32 v3, 0, v11, vcc
	v_mul_f64 v[11:12], v[3:4], v[1:2]
                                        ; implicit-def: $vgpr13_vgpr14
                                        ; implicit-def: $vgpr3_vgpr4
                                        ; implicit-def: $vgpr1_vgpr2
.LBB5_42:
	s_andn2_saveexec_b64 s[14:15], s[14:15]
	s_cbranch_execz .LBB5_44
; %bb.43:
	s_mov_b32 s16, 0
	s_mov_b32 s17, 0x40900000
	v_ldexp_f64 v[11:12], -v[13:14], v16
	v_cmp_ngt_f64_e64 vcc, |v[3:4]|, s[16:17]
	v_mov_b32_e32 v13, 0xfff00000
	v_cndmask_b32_e32 v4, v13, v12, vcc
	v_cndmask_b32_e32 v3, 0, v11, vcc
	v_mul_f64 v[11:12], v[3:4], v[1:2]
.LBB5_44:
	s_or_b64 exec, exec, s[14:15]
                                        ; implicit-def: $vgpr3_vgpr4
.LBB5_45:
	s_andn2_saveexec_b64 s[14:15], s[4:5]
	s_cbranch_execz .LBB5_51
; %bb.46:
	s_mov_b32 s4, 0
	v_and_b32_e32 v2, 0x7fffffff, v4
	v_mov_b32_e32 v1, v3
	s_mov_b32 s5, 0x40400000
	v_div_scale_f64 v[11:12], s[16:17], v[1:2], v[1:2], s[4:5]
	v_div_scale_f64 v[1:2], vcc, s[4:5], v[1:2], s[4:5]
	v_mov_b32_e32 v20, 0xfca7ab0c
	v_mov_b32_e32 v21, 0x3e928af3
	v_rcp_f64_e32 v[13:14], v[11:12]
	v_fma_f64 v[16:17], -v[11:12], v[13:14], 1.0
	v_fma_f64 v[13:14], v[13:14], v[16:17], v[13:14]
	v_fma_f64 v[16:17], -v[11:12], v[13:14], 1.0
	v_fma_f64 v[13:14], v[13:14], v[16:17], v[13:14]
	v_mul_f64 v[16:17], v[1:2], v[13:14]
	v_fma_f64 v[1:2], -v[11:12], v[16:17], v[1:2]
	v_mov_b32_e32 v11, 0xea87b950
	v_mov_b32_e32 v12, 0x3c545b8a
	v_div_fmas_f64 v[1:2], v[1:2], v[13:14], v[16:17]
	v_cmp_ngt_f64_e32 vcc, 0, v[3:4]
	v_div_fixup_f64 v[1:2], v[1:2], |v[3:4]|, s[4:5]
	s_mov_b32 s5, 0x3c61556d
	s_mov_b32 s4, 0xb352e8e6
	v_add_f64 v[1:2], v[1:2], -2.0
	v_fma_f64 v[11:12], v[1:2], s[4:5], v[11:12]
	s_mov_b32 s5, 0xbc61556d
	v_fma_f64 v[13:14], v[1:2], v[11:12], s[4:5]
	s_mov_b32 s4, 0xb2532277
	s_mov_b32 s5, 0xbc8acea3
	v_add_f64 v[13:14], v[13:14], s[4:5]
	s_mov_b32 s4, 0x9c773320
	s_mov_b32 s5, 0xbc82806c
	v_fma_f64 v[11:12], v[1:2], v[13:14], -v[11:12]
	v_add_f64 v[11:12], v[11:12], s[4:5]
	s_mov_b32 s4, 0xfceb588a
	s_mov_b32 s5, 0x3cb55915
	v_fma_f64 v[13:14], v[1:2], v[11:12], -v[13:14]
	;; [unrolled: 4-line block ×14, first 2 shown]
	v_add_f64 v[13:14], v[13:14], s[4:5]
	s_mov_b32 s4, 0x652b82fe
	s_mov_b32 s5, 0x3ff71547
	v_mul_f64 v[16:17], |v[3:4]|, s[4:5]
	s_mov_b32 s4, 0x5423dd80
	s_mov_b32 s5, 0xbe0334ca
	v_fma_f64 v[11:12], v[1:2], v[13:14], -v[11:12]
	v_rndne_f64_e32 v[16:17], v[16:17]
	v_add_f64 v[11:12], v[11:12], s[4:5]
	s_mov_b32 s4, 0xfefa39ef
	s_mov_b32 s5, 0xbfe62e42
	v_fma_f64 v[18:19], v[16:17], s[4:5], |v[3:4]|
	s_mov_b32 s4, 0x9ad53528
	s_mov_b32 s5, 0xbe30790b
	v_fma_f64 v[13:14], v[1:2], v[11:12], -v[13:14]
	v_add_f64 v[13:14], v[13:14], s[4:5]
	s_mov_b32 s4, 0x3b39803f
	s_mov_b32 s5, 0xbc7abc9e
	v_fma_f64 v[18:19], v[16:17], s[4:5], v[18:19]
	s_mov_b32 s4, 0x6a5dcb37
	s_mov_b32 s5, 0x3e5ade15
	v_cvt_i32_f64_e32 v16, v[16:17]
	v_fma_f64 v[11:12], v[1:2], v[13:14], -v[11:12]
	v_fma_f64 v[20:21], v[18:19], s[4:5], v[20:21]
	s_mov_b32 s4, 0x94bb46c1
	s_mov_b32 s5, 0xbe5c4153
	v_add_f64 v[11:12], v[11:12], s[4:5]
	s_mov_b32 s4, 0x623fde64
	s_mov_b32 s5, 0x3ec71dee
	v_fma_f64 v[20:21], v[18:19], v[20:21], s[4:5]
	s_mov_b32 s4, 0x7c89e6b0
	s_mov_b32 s5, 0x3efa0199
	v_fma_f64 v[13:14], v[1:2], v[11:12], -v[13:14]
	v_fma_f64 v[20:21], v[18:19], v[20:21], s[4:5]
	s_mov_b32 s4, 0x2e9e5443
	s_mov_b32 s5, 0xbe90dbfd
	v_add_f64 v[13:14], v[13:14], s[4:5]
	s_mov_b32 s4, 0x14761f6e
	s_mov_b32 s5, 0x3f2a01a0
	v_fma_f64 v[20:21], v[18:19], v[20:21], s[4:5]
	s_mov_b32 s4, 0x1852b7b0
	s_mov_b32 s5, 0x3f56c16c
	;; [unrolled: 10-line block ×4, first 2 shown]
	v_fma_f64 v[11:12], v[1:2], v[13:14], -v[11:12]
	v_fma_f64 v[20:21], v[18:19], v[20:21], s[4:5]
	s_mov_b32 s4, 0x53fcdb4c
	s_mov_b32 s5, 0xbf83fda0
	v_add_f64 v[11:12], v[11:12], s[4:5]
	s_mov_b32 s4, 0xb55b1514
	s_mov_b32 s5, 0x3fe8ea18
	v_fma_f64 v[20:21], v[18:19], v[20:21], 1.0
	v_fma_f64 v[1:2], v[1:2], v[11:12], -v[13:14]
	v_fma_f64 v[11:12], v[18:19], v[20:21], 1.0
	v_add_f64 v[1:2], v[1:2], s[4:5]
	s_mov_b32 s4, 0
	s_mov_b32 s5, 0x40900000
	v_ldexp_f64 v[11:12], v[11:12], v16
	v_cmp_ngt_f64_e64 s[4:5], |v[3:4]|, s[4:5]
	v_mov_b32_e32 v16, 0x7ff00000
	v_add_f64 v[13:14], v[1:2], -v[13:14]
	v_cndmask_b32_e64 v2, v16, v12, s[4:5]
	v_cndmask_b32_e64 v1, 0, v11, s[4:5]
	s_and_saveexec_b64 s[4:5], vcc
	s_xor_b64 s[4:5], exec, s[4:5]
	s_cbranch_execz .LBB5_48
; %bb.47:
	s_mov_b32 s16, 0
	s_brev_b32 s17, 8
	v_cmp_lt_f64_e64 vcc, |v[3:4]|, s[16:17]
	v_mov_b32_e32 v11, 0x100
	v_mul_f64 v[13:14], v[13:14], 0.5
	v_cndmask_b32_e32 v11, 0, v11, vcc
	v_ldexp_f64 v[3:4], |v[3:4]|, v11
	v_mul_f64 v[1:2], v[1:2], v[13:14]
	v_rsq_f64_e32 v[11:12], v[3:4]
	v_mul_f64 v[16:17], v[3:4], v[11:12]
	v_mul_f64 v[11:12], v[11:12], 0.5
	v_fma_f64 v[18:19], -v[11:12], v[16:17], 0.5
	v_fma_f64 v[16:17], v[16:17], v[18:19], v[16:17]
	v_fma_f64 v[11:12], v[11:12], v[18:19], v[11:12]
	v_fma_f64 v[18:19], -v[16:17], v[16:17], v[3:4]
	v_fma_f64 v[16:17], v[18:19], v[11:12], v[16:17]
	v_fma_f64 v[18:19], -v[16:17], v[16:17], v[3:4]
	v_fma_f64 v[11:12], v[18:19], v[11:12], v[16:17]
	v_mov_b32_e32 v16, 0xffffff80
	v_mov_b32_e32 v17, 0x260
	v_cndmask_b32_e32 v16, 0, v16, vcc
	v_cmp_class_f64_e32 vcc, v[3:4], v17
	v_ldexp_f64 v[11:12], v[11:12], v16
	v_cndmask_b32_e32 v4, v12, v4, vcc
	v_cndmask_b32_e32 v3, v11, v3, vcc
	v_div_scale_f64 v[11:12], s[16:17], v[3:4], v[3:4], v[1:2]
	v_div_scale_f64 v[18:19], vcc, v[1:2], v[3:4], v[1:2]
	v_rcp_f64_e32 v[13:14], v[11:12]
	v_fma_f64 v[16:17], -v[11:12], v[13:14], 1.0
	v_fma_f64 v[13:14], v[13:14], v[16:17], v[13:14]
	v_fma_f64 v[16:17], -v[11:12], v[13:14], 1.0
	v_fma_f64 v[13:14], v[13:14], v[16:17], v[13:14]
	v_mul_f64 v[16:17], v[18:19], v[13:14]
	v_fma_f64 v[11:12], -v[11:12], v[16:17], v[18:19]
	v_div_fmas_f64 v[11:12], v[11:12], v[13:14], v[16:17]
                                        ; implicit-def: $vgpr13_vgpr14
	v_div_fixup_f64 v[11:12], v[11:12], v[3:4], v[1:2]
                                        ; implicit-def: $vgpr3_vgpr4
                                        ; implicit-def: $vgpr1_vgpr2
.LBB5_48:
	s_andn2_saveexec_b64 s[4:5], s[4:5]
	s_cbranch_execz .LBB5_50
; %bb.49:
	s_mov_b32 s16, 0
	s_brev_b32 s17, 8
	v_cmp_lt_f64_e64 vcc, |v[3:4]|, s[16:17]
	v_mov_b32_e32 v11, 0x100
	v_mul_f64 v[13:14], v[13:14], -0.5
	v_cndmask_b32_e32 v11, 0, v11, vcc
	v_ldexp_f64 v[3:4], |v[3:4]|, v11
	v_mul_f64 v[1:2], v[1:2], v[13:14]
	v_rsq_f64_e32 v[11:12], v[3:4]
	v_mul_f64 v[16:17], v[3:4], v[11:12]
	v_mul_f64 v[11:12], v[11:12], 0.5
	v_fma_f64 v[18:19], -v[11:12], v[16:17], 0.5
	v_fma_f64 v[16:17], v[16:17], v[18:19], v[16:17]
	v_fma_f64 v[11:12], v[11:12], v[18:19], v[11:12]
	v_fma_f64 v[18:19], -v[16:17], v[16:17], v[3:4]
	v_fma_f64 v[16:17], v[18:19], v[11:12], v[16:17]
	v_fma_f64 v[18:19], -v[16:17], v[16:17], v[3:4]
	v_fma_f64 v[11:12], v[18:19], v[11:12], v[16:17]
	v_mov_b32_e32 v16, 0xffffff80
	v_mov_b32_e32 v17, 0x260
	v_cndmask_b32_e32 v16, 0, v16, vcc
	v_cmp_class_f64_e32 vcc, v[3:4], v17
	v_ldexp_f64 v[11:12], v[11:12], v16
	v_cndmask_b32_e32 v4, v12, v4, vcc
	v_cndmask_b32_e32 v3, v11, v3, vcc
	v_div_scale_f64 v[11:12], s[16:17], v[3:4], v[3:4], v[1:2]
	v_div_scale_f64 v[18:19], vcc, v[1:2], v[3:4], v[1:2]
	v_rcp_f64_e32 v[13:14], v[11:12]
	v_fma_f64 v[16:17], -v[11:12], v[13:14], 1.0
	v_fma_f64 v[13:14], v[13:14], v[16:17], v[13:14]
	v_fma_f64 v[16:17], -v[11:12], v[13:14], 1.0
	v_fma_f64 v[13:14], v[13:14], v[16:17], v[13:14]
	v_mul_f64 v[16:17], v[18:19], v[13:14]
	v_fma_f64 v[11:12], -v[11:12], v[16:17], v[18:19]
	v_div_fmas_f64 v[11:12], v[11:12], v[13:14], v[16:17]
	v_div_fixup_f64 v[11:12], v[11:12], v[3:4], v[1:2]
.LBB5_50:
	s_or_b64 exec, exec, s[4:5]
.LBB5_51:
	s_or_b64 exec, exec, s[14:15]
	s_add_u32 s4, s8, s12
	s_addc_u32 s5, s9, s13
	v_mov_b32_e32 v1, s5
	v_add_co_u32_e32 v2, vcc, s4, v15
	v_addc_co_u32_e32 v3, vcc, 0, v1, vcc
	v_add_co_u32_e32 v1, vcc, 0x1000, v2
	v_addc_co_u32_e32 v2, vcc, 0, v3, vcc
	global_store_dwordx4 v15, v[5:8], s[4:5]
	global_store_dwordx4 v[1:2], v[9:12], off
	s_branch .LBB5_2
.LBB5_52:
	s_getpc_b64 s[4:5]
	s_add_u32 s4, s4, _ZN2at6native25elementwise_kernel_helperILb0EZZZNS0_12_GLOBAL__N_130modified_bessel_i1_kernel_cudaERNS_18TensorIteratorBaseEENKUlvE_clEvENKUlvE_clEvEUldE_NS0_6memory8policies11unroll_baseILi256ESt5arrayIPcLm2EE23TrivialOffsetCalculatorILi1EjESF_NS8_15LoadWithoutCastENS8_16StoreWithoutCastELi4ELi1EEEEEvT0_T1_@rel32@lo+4
	s_addc_u32 s5, s5, _ZN2at6native25elementwise_kernel_helperILb0EZZZNS0_12_GLOBAL__N_130modified_bessel_i1_kernel_cudaERNS_18TensorIteratorBaseEENKUlvE_clEvENKUlvE_clEvEUldE_NS0_6memory8policies11unroll_baseILi256ESt5arrayIPcLm2EE23TrivialOffsetCalculatorILi1EjESF_NS8_15LoadWithoutCastENS8_16StoreWithoutCastELi4ELi1EEEEEvT0_T1_@rel32@hi+12
	s_mov_b32 s12, s6
	v_mov_b32_e32 v31, v0
	v_mov_b32_e32 v0, s8
	;; [unrolled: 1-line block ×6, first 2 shown]
	s_swappc_b64 s[30:31], s[4:5]
	s_endpgm
	.section	.rodata,"a",@progbits
	.p2align	6, 0x0
	.amdhsa_kernel _ZN2at6native29vectorized_elementwise_kernelILi2EZZZNS0_12_GLOBAL__N_130modified_bessel_i1_kernel_cudaERNS_18TensorIteratorBaseEENKUlvE_clEvENKUlvE_clEvEUldE_St5arrayIPcLm2EEEEviT0_T1_
		.amdhsa_group_segment_fixed_size 0
		.amdhsa_private_segment_fixed_size 0
		.amdhsa_kernarg_size 24
		.amdhsa_user_sgpr_count 6
		.amdhsa_user_sgpr_private_segment_buffer 1
		.amdhsa_user_sgpr_dispatch_ptr 0
		.amdhsa_user_sgpr_queue_ptr 0
		.amdhsa_user_sgpr_kernarg_segment_ptr 1
		.amdhsa_user_sgpr_dispatch_id 0
		.amdhsa_user_sgpr_flat_scratch_init 0
		.amdhsa_user_sgpr_private_segment_size 0
		.amdhsa_uses_dynamic_stack 0
		.amdhsa_system_sgpr_private_segment_wavefront_offset 0
		.amdhsa_system_sgpr_workgroup_id_x 1
		.amdhsa_system_sgpr_workgroup_id_y 0
		.amdhsa_system_sgpr_workgroup_id_z 0
		.amdhsa_system_sgpr_workgroup_info 0
		.amdhsa_system_vgpr_workitem_id 0
		.amdhsa_next_free_vgpr 32
		.amdhsa_next_free_sgpr 33
		.amdhsa_reserve_vcc 1
		.amdhsa_reserve_flat_scratch 0
		.amdhsa_float_round_mode_32 0
		.amdhsa_float_round_mode_16_64 0
		.amdhsa_float_denorm_mode_32 3
		.amdhsa_float_denorm_mode_16_64 3
		.amdhsa_dx10_clamp 1
		.amdhsa_ieee_mode 1
		.amdhsa_fp16_overflow 0
		.amdhsa_exception_fp_ieee_invalid_op 0
		.amdhsa_exception_fp_denorm_src 0
		.amdhsa_exception_fp_ieee_div_zero 0
		.amdhsa_exception_fp_ieee_overflow 0
		.amdhsa_exception_fp_ieee_underflow 0
		.amdhsa_exception_fp_ieee_inexact 0
		.amdhsa_exception_int_div_zero 0
	.end_amdhsa_kernel
	.section	.text._ZN2at6native29vectorized_elementwise_kernelILi2EZZZNS0_12_GLOBAL__N_130modified_bessel_i1_kernel_cudaERNS_18TensorIteratorBaseEENKUlvE_clEvENKUlvE_clEvEUldE_St5arrayIPcLm2EEEEviT0_T1_,"axG",@progbits,_ZN2at6native29vectorized_elementwise_kernelILi2EZZZNS0_12_GLOBAL__N_130modified_bessel_i1_kernel_cudaERNS_18TensorIteratorBaseEENKUlvE_clEvENKUlvE_clEvEUldE_St5arrayIPcLm2EEEEviT0_T1_,comdat
.Lfunc_end5:
	.size	_ZN2at6native29vectorized_elementwise_kernelILi2EZZZNS0_12_GLOBAL__N_130modified_bessel_i1_kernel_cudaERNS_18TensorIteratorBaseEENKUlvE_clEvENKUlvE_clEvEUldE_St5arrayIPcLm2EEEEviT0_T1_, .Lfunc_end5-_ZN2at6native29vectorized_elementwise_kernelILi2EZZZNS0_12_GLOBAL__N_130modified_bessel_i1_kernel_cudaERNS_18TensorIteratorBaseEENKUlvE_clEvENKUlvE_clEvEUldE_St5arrayIPcLm2EEEEviT0_T1_
                                        ; -- End function
	.set _ZN2at6native29vectorized_elementwise_kernelILi2EZZZNS0_12_GLOBAL__N_130modified_bessel_i1_kernel_cudaERNS_18TensorIteratorBaseEENKUlvE_clEvENKUlvE_clEvEUldE_St5arrayIPcLm2EEEEviT0_T1_.num_vgpr, max(32, .L_ZN2at6native25elementwise_kernel_helperILb0EZZZNS0_12_GLOBAL__N_130modified_bessel_i1_kernel_cudaERNS_18TensorIteratorBaseEENKUlvE_clEvENKUlvE_clEvEUldE_NS0_6memory8policies11unroll_baseILi256ESt5arrayIPcLm2EE23TrivialOffsetCalculatorILi1EjESF_NS8_15LoadWithoutCastENS8_16StoreWithoutCastELi4ELi1EEEEEvT0_T1_.num_vgpr)
	.set _ZN2at6native29vectorized_elementwise_kernelILi2EZZZNS0_12_GLOBAL__N_130modified_bessel_i1_kernel_cudaERNS_18TensorIteratorBaseEENKUlvE_clEvENKUlvE_clEvEUldE_St5arrayIPcLm2EEEEviT0_T1_.num_agpr, max(0, .L_ZN2at6native25elementwise_kernel_helperILb0EZZZNS0_12_GLOBAL__N_130modified_bessel_i1_kernel_cudaERNS_18TensorIteratorBaseEENKUlvE_clEvENKUlvE_clEvEUldE_NS0_6memory8policies11unroll_baseILi256ESt5arrayIPcLm2EE23TrivialOffsetCalculatorILi1EjESF_NS8_15LoadWithoutCastENS8_16StoreWithoutCastELi4ELi1EEEEEvT0_T1_.num_agpr)
	.set _ZN2at6native29vectorized_elementwise_kernelILi2EZZZNS0_12_GLOBAL__N_130modified_bessel_i1_kernel_cudaERNS_18TensorIteratorBaseEENKUlvE_clEvENKUlvE_clEvEUldE_St5arrayIPcLm2EEEEviT0_T1_.numbered_sgpr, max(33, .L_ZN2at6native25elementwise_kernel_helperILb0EZZZNS0_12_GLOBAL__N_130modified_bessel_i1_kernel_cudaERNS_18TensorIteratorBaseEENKUlvE_clEvENKUlvE_clEvEUldE_NS0_6memory8policies11unroll_baseILi256ESt5arrayIPcLm2EE23TrivialOffsetCalculatorILi1EjESF_NS8_15LoadWithoutCastENS8_16StoreWithoutCastELi4ELi1EEEEEvT0_T1_.numbered_sgpr)
	.set _ZN2at6native29vectorized_elementwise_kernelILi2EZZZNS0_12_GLOBAL__N_130modified_bessel_i1_kernel_cudaERNS_18TensorIteratorBaseEENKUlvE_clEvENKUlvE_clEvEUldE_St5arrayIPcLm2EEEEviT0_T1_.num_named_barrier, max(0, .L_ZN2at6native25elementwise_kernel_helperILb0EZZZNS0_12_GLOBAL__N_130modified_bessel_i1_kernel_cudaERNS_18TensorIteratorBaseEENKUlvE_clEvENKUlvE_clEvEUldE_NS0_6memory8policies11unroll_baseILi256ESt5arrayIPcLm2EE23TrivialOffsetCalculatorILi1EjESF_NS8_15LoadWithoutCastENS8_16StoreWithoutCastELi4ELi1EEEEEvT0_T1_.num_named_barrier)
	.set _ZN2at6native29vectorized_elementwise_kernelILi2EZZZNS0_12_GLOBAL__N_130modified_bessel_i1_kernel_cudaERNS_18TensorIteratorBaseEENKUlvE_clEvENKUlvE_clEvEUldE_St5arrayIPcLm2EEEEviT0_T1_.private_seg_size, 0+max(.L_ZN2at6native25elementwise_kernel_helperILb0EZZZNS0_12_GLOBAL__N_130modified_bessel_i1_kernel_cudaERNS_18TensorIteratorBaseEENKUlvE_clEvENKUlvE_clEvEUldE_NS0_6memory8policies11unroll_baseILi256ESt5arrayIPcLm2EE23TrivialOffsetCalculatorILi1EjESF_NS8_15LoadWithoutCastENS8_16StoreWithoutCastELi4ELi1EEEEEvT0_T1_.private_seg_size)
	.set _ZN2at6native29vectorized_elementwise_kernelILi2EZZZNS0_12_GLOBAL__N_130modified_bessel_i1_kernel_cudaERNS_18TensorIteratorBaseEENKUlvE_clEvENKUlvE_clEvEUldE_St5arrayIPcLm2EEEEviT0_T1_.uses_vcc, or(1, .L_ZN2at6native25elementwise_kernel_helperILb0EZZZNS0_12_GLOBAL__N_130modified_bessel_i1_kernel_cudaERNS_18TensorIteratorBaseEENKUlvE_clEvENKUlvE_clEvEUldE_NS0_6memory8policies11unroll_baseILi256ESt5arrayIPcLm2EE23TrivialOffsetCalculatorILi1EjESF_NS8_15LoadWithoutCastENS8_16StoreWithoutCastELi4ELi1EEEEEvT0_T1_.uses_vcc)
	.set _ZN2at6native29vectorized_elementwise_kernelILi2EZZZNS0_12_GLOBAL__N_130modified_bessel_i1_kernel_cudaERNS_18TensorIteratorBaseEENKUlvE_clEvENKUlvE_clEvEUldE_St5arrayIPcLm2EEEEviT0_T1_.uses_flat_scratch, or(0, .L_ZN2at6native25elementwise_kernel_helperILb0EZZZNS0_12_GLOBAL__N_130modified_bessel_i1_kernel_cudaERNS_18TensorIteratorBaseEENKUlvE_clEvENKUlvE_clEvEUldE_NS0_6memory8policies11unroll_baseILi256ESt5arrayIPcLm2EE23TrivialOffsetCalculatorILi1EjESF_NS8_15LoadWithoutCastENS8_16StoreWithoutCastELi4ELi1EEEEEvT0_T1_.uses_flat_scratch)
	.set _ZN2at6native29vectorized_elementwise_kernelILi2EZZZNS0_12_GLOBAL__N_130modified_bessel_i1_kernel_cudaERNS_18TensorIteratorBaseEENKUlvE_clEvENKUlvE_clEvEUldE_St5arrayIPcLm2EEEEviT0_T1_.has_dyn_sized_stack, or(0, .L_ZN2at6native25elementwise_kernel_helperILb0EZZZNS0_12_GLOBAL__N_130modified_bessel_i1_kernel_cudaERNS_18TensorIteratorBaseEENKUlvE_clEvENKUlvE_clEvEUldE_NS0_6memory8policies11unroll_baseILi256ESt5arrayIPcLm2EE23TrivialOffsetCalculatorILi1EjESF_NS8_15LoadWithoutCastENS8_16StoreWithoutCastELi4ELi1EEEEEvT0_T1_.has_dyn_sized_stack)
	.set _ZN2at6native29vectorized_elementwise_kernelILi2EZZZNS0_12_GLOBAL__N_130modified_bessel_i1_kernel_cudaERNS_18TensorIteratorBaseEENKUlvE_clEvENKUlvE_clEvEUldE_St5arrayIPcLm2EEEEviT0_T1_.has_recursion, or(0, .L_ZN2at6native25elementwise_kernel_helperILb0EZZZNS0_12_GLOBAL__N_130modified_bessel_i1_kernel_cudaERNS_18TensorIteratorBaseEENKUlvE_clEvENKUlvE_clEvEUldE_NS0_6memory8policies11unroll_baseILi256ESt5arrayIPcLm2EE23TrivialOffsetCalculatorILi1EjESF_NS8_15LoadWithoutCastENS8_16StoreWithoutCastELi4ELi1EEEEEvT0_T1_.has_recursion)
	.set _ZN2at6native29vectorized_elementwise_kernelILi2EZZZNS0_12_GLOBAL__N_130modified_bessel_i1_kernel_cudaERNS_18TensorIteratorBaseEENKUlvE_clEvENKUlvE_clEvEUldE_St5arrayIPcLm2EEEEviT0_T1_.has_indirect_call, or(0, .L_ZN2at6native25elementwise_kernel_helperILb0EZZZNS0_12_GLOBAL__N_130modified_bessel_i1_kernel_cudaERNS_18TensorIteratorBaseEENKUlvE_clEvENKUlvE_clEvEUldE_NS0_6memory8policies11unroll_baseILi256ESt5arrayIPcLm2EE23TrivialOffsetCalculatorILi1EjESF_NS8_15LoadWithoutCastENS8_16StoreWithoutCastELi4ELi1EEEEEvT0_T1_.has_indirect_call)
	.section	.AMDGPU.csdata,"",@progbits
; Kernel info:
; codeLenInByte = 13280
; TotalNumSgprs: 37
; NumVgprs: 32
; ScratchSize: 0
; MemoryBound: 0
; FloatMode: 240
; IeeeMode: 1
; LDSByteSize: 0 bytes/workgroup (compile time only)
; SGPRBlocks: 4
; VGPRBlocks: 7
; NumSGPRsForWavesPerEU: 37
; NumVGPRsForWavesPerEU: 32
; Occupancy: 8
; WaveLimiterHint : 1
; COMPUTE_PGM_RSRC2:SCRATCH_EN: 0
; COMPUTE_PGM_RSRC2:USER_SGPR: 6
; COMPUTE_PGM_RSRC2:TRAP_HANDLER: 0
; COMPUTE_PGM_RSRC2:TGID_X_EN: 1
; COMPUTE_PGM_RSRC2:TGID_Y_EN: 0
; COMPUTE_PGM_RSRC2:TGID_Z_EN: 0
; COMPUTE_PGM_RSRC2:TIDIG_COMP_CNT: 0
	.section	.text._ZN2at6native27unrolled_elementwise_kernelIZZZNS0_12_GLOBAL__N_130modified_bessel_i1_kernel_cudaERNS_18TensorIteratorBaseEENKUlvE_clEvENKUlvE_clEvEUldE_St5arrayIPcLm2EELi4E23TrivialOffsetCalculatorILi1EjESC_NS0_6memory15LoadWithoutCastENSD_16StoreWithoutCastEEEviT_T0_T2_T3_T4_T5_,"axG",@progbits,_ZN2at6native27unrolled_elementwise_kernelIZZZNS0_12_GLOBAL__N_130modified_bessel_i1_kernel_cudaERNS_18TensorIteratorBaseEENKUlvE_clEvENKUlvE_clEvEUldE_St5arrayIPcLm2EELi4E23TrivialOffsetCalculatorILi1EjESC_NS0_6memory15LoadWithoutCastENSD_16StoreWithoutCastEEEviT_T0_T2_T3_T4_T5_,comdat
	.globl	_ZN2at6native27unrolled_elementwise_kernelIZZZNS0_12_GLOBAL__N_130modified_bessel_i1_kernel_cudaERNS_18TensorIteratorBaseEENKUlvE_clEvENKUlvE_clEvEUldE_St5arrayIPcLm2EELi4E23TrivialOffsetCalculatorILi1EjESC_NS0_6memory15LoadWithoutCastENSD_16StoreWithoutCastEEEviT_T0_T2_T3_T4_T5_ ; -- Begin function _ZN2at6native27unrolled_elementwise_kernelIZZZNS0_12_GLOBAL__N_130modified_bessel_i1_kernel_cudaERNS_18TensorIteratorBaseEENKUlvE_clEvENKUlvE_clEvEUldE_St5arrayIPcLm2EELi4E23TrivialOffsetCalculatorILi1EjESC_NS0_6memory15LoadWithoutCastENSD_16StoreWithoutCastEEEviT_T0_T2_T3_T4_T5_
	.p2align	8
	.type	_ZN2at6native27unrolled_elementwise_kernelIZZZNS0_12_GLOBAL__N_130modified_bessel_i1_kernel_cudaERNS_18TensorIteratorBaseEENKUlvE_clEvENKUlvE_clEvEUldE_St5arrayIPcLm2EELi4E23TrivialOffsetCalculatorILi1EjESC_NS0_6memory15LoadWithoutCastENSD_16StoreWithoutCastEEEviT_T0_T2_T3_T4_T5_,@function
_ZN2at6native27unrolled_elementwise_kernelIZZZNS0_12_GLOBAL__N_130modified_bessel_i1_kernel_cudaERNS_18TensorIteratorBaseEENKUlvE_clEvENKUlvE_clEvEUldE_St5arrayIPcLm2EELi4E23TrivialOffsetCalculatorILi1EjESC_NS0_6memory15LoadWithoutCastENSD_16StoreWithoutCastEEEviT_T0_T2_T3_T4_T5_: ; @_ZN2at6native27unrolled_elementwise_kernelIZZZNS0_12_GLOBAL__N_130modified_bessel_i1_kernel_cudaERNS_18TensorIteratorBaseEENKUlvE_clEvENKUlvE_clEvEUldE_St5arrayIPcLm2EELi4E23TrivialOffsetCalculatorILi1EjESC_NS0_6memory15LoadWithoutCastENSD_16StoreWithoutCastEEEviT_T0_T2_T3_T4_T5_
; %bb.0:
	s_add_u32 s0, s0, s7
	s_load_dword s7, s[4:5], 0x0
	s_load_dwordx4 s[8:11], s[4:5], 0x8
	s_addc_u32 s1, s1, 0
	s_lshl_b32 s4, s6, 10
	s_mov_b32 s12, s6
	s_waitcnt lgkmcnt(0)
	s_sub_i32 s7, s7, s4
	s_getpc_b64 s[4:5]
	s_add_u32 s4, s4, _ZN2at6native25elementwise_kernel_helperILb0EZZZNS0_12_GLOBAL__N_130modified_bessel_i1_kernel_cudaERNS_18TensorIteratorBaseEENKUlvE_clEvENKUlvE_clEvEUldE_NS0_6memory8policies11unroll_baseILi256ESt5arrayIPcLm2EE23TrivialOffsetCalculatorILi1EjESF_NS8_15LoadWithoutCastENS8_16StoreWithoutCastELi4ELi1EEEEEvT0_T1_@rel32@lo+4
	s_addc_u32 s5, s5, _ZN2at6native25elementwise_kernel_helperILb0EZZZNS0_12_GLOBAL__N_130modified_bessel_i1_kernel_cudaERNS_18TensorIteratorBaseEENKUlvE_clEvENKUlvE_clEvEUldE_NS0_6memory8policies11unroll_baseILi256ESt5arrayIPcLm2EE23TrivialOffsetCalculatorILi1EjESF_NS8_15LoadWithoutCastENS8_16StoreWithoutCastELi4ELi1EEEEEvT0_T1_@rel32@hi+12
	v_mov_b32_e32 v31, v0
	v_mov_b32_e32 v0, s8
	;; [unrolled: 1-line block ×6, first 2 shown]
	s_mov_b32 s32, 0
	s_swappc_b64 s[30:31], s[4:5]
	s_endpgm
	.section	.rodata,"a",@progbits
	.p2align	6, 0x0
	.amdhsa_kernel _ZN2at6native27unrolled_elementwise_kernelIZZZNS0_12_GLOBAL__N_130modified_bessel_i1_kernel_cudaERNS_18TensorIteratorBaseEENKUlvE_clEvENKUlvE_clEvEUldE_St5arrayIPcLm2EELi4E23TrivialOffsetCalculatorILi1EjESC_NS0_6memory15LoadWithoutCastENSD_16StoreWithoutCastEEEviT_T0_T2_T3_T4_T5_
		.amdhsa_group_segment_fixed_size 0
		.amdhsa_private_segment_fixed_size 0
		.amdhsa_kernarg_size 28
		.amdhsa_user_sgpr_count 6
		.amdhsa_user_sgpr_private_segment_buffer 1
		.amdhsa_user_sgpr_dispatch_ptr 0
		.amdhsa_user_sgpr_queue_ptr 0
		.amdhsa_user_sgpr_kernarg_segment_ptr 1
		.amdhsa_user_sgpr_dispatch_id 0
		.amdhsa_user_sgpr_flat_scratch_init 0
		.amdhsa_user_sgpr_private_segment_size 0
		.amdhsa_uses_dynamic_stack 0
		.amdhsa_system_sgpr_private_segment_wavefront_offset 0
		.amdhsa_system_sgpr_workgroup_id_x 1
		.amdhsa_system_sgpr_workgroup_id_y 0
		.amdhsa_system_sgpr_workgroup_id_z 0
		.amdhsa_system_sgpr_workgroup_info 0
		.amdhsa_system_vgpr_workitem_id 0
		.amdhsa_next_free_vgpr 32
		.amdhsa_next_free_sgpr 33
		.amdhsa_reserve_vcc 1
		.amdhsa_reserve_flat_scratch 0
		.amdhsa_float_round_mode_32 0
		.amdhsa_float_round_mode_16_64 0
		.amdhsa_float_denorm_mode_32 3
		.amdhsa_float_denorm_mode_16_64 3
		.amdhsa_dx10_clamp 1
		.amdhsa_ieee_mode 1
		.amdhsa_fp16_overflow 0
		.amdhsa_exception_fp_ieee_invalid_op 0
		.amdhsa_exception_fp_denorm_src 0
		.amdhsa_exception_fp_ieee_div_zero 0
		.amdhsa_exception_fp_ieee_overflow 0
		.amdhsa_exception_fp_ieee_underflow 0
		.amdhsa_exception_fp_ieee_inexact 0
		.amdhsa_exception_int_div_zero 0
	.end_amdhsa_kernel
	.section	.text._ZN2at6native27unrolled_elementwise_kernelIZZZNS0_12_GLOBAL__N_130modified_bessel_i1_kernel_cudaERNS_18TensorIteratorBaseEENKUlvE_clEvENKUlvE_clEvEUldE_St5arrayIPcLm2EELi4E23TrivialOffsetCalculatorILi1EjESC_NS0_6memory15LoadWithoutCastENSD_16StoreWithoutCastEEEviT_T0_T2_T3_T4_T5_,"axG",@progbits,_ZN2at6native27unrolled_elementwise_kernelIZZZNS0_12_GLOBAL__N_130modified_bessel_i1_kernel_cudaERNS_18TensorIteratorBaseEENKUlvE_clEvENKUlvE_clEvEUldE_St5arrayIPcLm2EELi4E23TrivialOffsetCalculatorILi1EjESC_NS0_6memory15LoadWithoutCastENSD_16StoreWithoutCastEEEviT_T0_T2_T3_T4_T5_,comdat
.Lfunc_end6:
	.size	_ZN2at6native27unrolled_elementwise_kernelIZZZNS0_12_GLOBAL__N_130modified_bessel_i1_kernel_cudaERNS_18TensorIteratorBaseEENKUlvE_clEvENKUlvE_clEvEUldE_St5arrayIPcLm2EELi4E23TrivialOffsetCalculatorILi1EjESC_NS0_6memory15LoadWithoutCastENSD_16StoreWithoutCastEEEviT_T0_T2_T3_T4_T5_, .Lfunc_end6-_ZN2at6native27unrolled_elementwise_kernelIZZZNS0_12_GLOBAL__N_130modified_bessel_i1_kernel_cudaERNS_18TensorIteratorBaseEENKUlvE_clEvENKUlvE_clEvEUldE_St5arrayIPcLm2EELi4E23TrivialOffsetCalculatorILi1EjESC_NS0_6memory15LoadWithoutCastENSD_16StoreWithoutCastEEEviT_T0_T2_T3_T4_T5_
                                        ; -- End function
	.set _ZN2at6native27unrolled_elementwise_kernelIZZZNS0_12_GLOBAL__N_130modified_bessel_i1_kernel_cudaERNS_18TensorIteratorBaseEENKUlvE_clEvENKUlvE_clEvEUldE_St5arrayIPcLm2EELi4E23TrivialOffsetCalculatorILi1EjESC_NS0_6memory15LoadWithoutCastENSD_16StoreWithoutCastEEEviT_T0_T2_T3_T4_T5_.num_vgpr, max(32, .L_ZN2at6native25elementwise_kernel_helperILb0EZZZNS0_12_GLOBAL__N_130modified_bessel_i1_kernel_cudaERNS_18TensorIteratorBaseEENKUlvE_clEvENKUlvE_clEvEUldE_NS0_6memory8policies11unroll_baseILi256ESt5arrayIPcLm2EE23TrivialOffsetCalculatorILi1EjESF_NS8_15LoadWithoutCastENS8_16StoreWithoutCastELi4ELi1EEEEEvT0_T1_.num_vgpr)
	.set _ZN2at6native27unrolled_elementwise_kernelIZZZNS0_12_GLOBAL__N_130modified_bessel_i1_kernel_cudaERNS_18TensorIteratorBaseEENKUlvE_clEvENKUlvE_clEvEUldE_St5arrayIPcLm2EELi4E23TrivialOffsetCalculatorILi1EjESC_NS0_6memory15LoadWithoutCastENSD_16StoreWithoutCastEEEviT_T0_T2_T3_T4_T5_.num_agpr, max(0, .L_ZN2at6native25elementwise_kernel_helperILb0EZZZNS0_12_GLOBAL__N_130modified_bessel_i1_kernel_cudaERNS_18TensorIteratorBaseEENKUlvE_clEvENKUlvE_clEvEUldE_NS0_6memory8policies11unroll_baseILi256ESt5arrayIPcLm2EE23TrivialOffsetCalculatorILi1EjESF_NS8_15LoadWithoutCastENS8_16StoreWithoutCastELi4ELi1EEEEEvT0_T1_.num_agpr)
	.set _ZN2at6native27unrolled_elementwise_kernelIZZZNS0_12_GLOBAL__N_130modified_bessel_i1_kernel_cudaERNS_18TensorIteratorBaseEENKUlvE_clEvENKUlvE_clEvEUldE_St5arrayIPcLm2EELi4E23TrivialOffsetCalculatorILi1EjESC_NS0_6memory15LoadWithoutCastENSD_16StoreWithoutCastEEEviT_T0_T2_T3_T4_T5_.numbered_sgpr, max(33, .L_ZN2at6native25elementwise_kernel_helperILb0EZZZNS0_12_GLOBAL__N_130modified_bessel_i1_kernel_cudaERNS_18TensorIteratorBaseEENKUlvE_clEvENKUlvE_clEvEUldE_NS0_6memory8policies11unroll_baseILi256ESt5arrayIPcLm2EE23TrivialOffsetCalculatorILi1EjESF_NS8_15LoadWithoutCastENS8_16StoreWithoutCastELi4ELi1EEEEEvT0_T1_.numbered_sgpr)
	.set _ZN2at6native27unrolled_elementwise_kernelIZZZNS0_12_GLOBAL__N_130modified_bessel_i1_kernel_cudaERNS_18TensorIteratorBaseEENKUlvE_clEvENKUlvE_clEvEUldE_St5arrayIPcLm2EELi4E23TrivialOffsetCalculatorILi1EjESC_NS0_6memory15LoadWithoutCastENSD_16StoreWithoutCastEEEviT_T0_T2_T3_T4_T5_.num_named_barrier, max(0, .L_ZN2at6native25elementwise_kernel_helperILb0EZZZNS0_12_GLOBAL__N_130modified_bessel_i1_kernel_cudaERNS_18TensorIteratorBaseEENKUlvE_clEvENKUlvE_clEvEUldE_NS0_6memory8policies11unroll_baseILi256ESt5arrayIPcLm2EE23TrivialOffsetCalculatorILi1EjESF_NS8_15LoadWithoutCastENS8_16StoreWithoutCastELi4ELi1EEEEEvT0_T1_.num_named_barrier)
	.set _ZN2at6native27unrolled_elementwise_kernelIZZZNS0_12_GLOBAL__N_130modified_bessel_i1_kernel_cudaERNS_18TensorIteratorBaseEENKUlvE_clEvENKUlvE_clEvEUldE_St5arrayIPcLm2EELi4E23TrivialOffsetCalculatorILi1EjESC_NS0_6memory15LoadWithoutCastENSD_16StoreWithoutCastEEEviT_T0_T2_T3_T4_T5_.private_seg_size, 0+max(.L_ZN2at6native25elementwise_kernel_helperILb0EZZZNS0_12_GLOBAL__N_130modified_bessel_i1_kernel_cudaERNS_18TensorIteratorBaseEENKUlvE_clEvENKUlvE_clEvEUldE_NS0_6memory8policies11unroll_baseILi256ESt5arrayIPcLm2EE23TrivialOffsetCalculatorILi1EjESF_NS8_15LoadWithoutCastENS8_16StoreWithoutCastELi4ELi1EEEEEvT0_T1_.private_seg_size)
	.set _ZN2at6native27unrolled_elementwise_kernelIZZZNS0_12_GLOBAL__N_130modified_bessel_i1_kernel_cudaERNS_18TensorIteratorBaseEENKUlvE_clEvENKUlvE_clEvEUldE_St5arrayIPcLm2EELi4E23TrivialOffsetCalculatorILi1EjESC_NS0_6memory15LoadWithoutCastENSD_16StoreWithoutCastEEEviT_T0_T2_T3_T4_T5_.uses_vcc, or(1, .L_ZN2at6native25elementwise_kernel_helperILb0EZZZNS0_12_GLOBAL__N_130modified_bessel_i1_kernel_cudaERNS_18TensorIteratorBaseEENKUlvE_clEvENKUlvE_clEvEUldE_NS0_6memory8policies11unroll_baseILi256ESt5arrayIPcLm2EE23TrivialOffsetCalculatorILi1EjESF_NS8_15LoadWithoutCastENS8_16StoreWithoutCastELi4ELi1EEEEEvT0_T1_.uses_vcc)
	.set _ZN2at6native27unrolled_elementwise_kernelIZZZNS0_12_GLOBAL__N_130modified_bessel_i1_kernel_cudaERNS_18TensorIteratorBaseEENKUlvE_clEvENKUlvE_clEvEUldE_St5arrayIPcLm2EELi4E23TrivialOffsetCalculatorILi1EjESC_NS0_6memory15LoadWithoutCastENSD_16StoreWithoutCastEEEviT_T0_T2_T3_T4_T5_.uses_flat_scratch, or(0, .L_ZN2at6native25elementwise_kernel_helperILb0EZZZNS0_12_GLOBAL__N_130modified_bessel_i1_kernel_cudaERNS_18TensorIteratorBaseEENKUlvE_clEvENKUlvE_clEvEUldE_NS0_6memory8policies11unroll_baseILi256ESt5arrayIPcLm2EE23TrivialOffsetCalculatorILi1EjESF_NS8_15LoadWithoutCastENS8_16StoreWithoutCastELi4ELi1EEEEEvT0_T1_.uses_flat_scratch)
	.set _ZN2at6native27unrolled_elementwise_kernelIZZZNS0_12_GLOBAL__N_130modified_bessel_i1_kernel_cudaERNS_18TensorIteratorBaseEENKUlvE_clEvENKUlvE_clEvEUldE_St5arrayIPcLm2EELi4E23TrivialOffsetCalculatorILi1EjESC_NS0_6memory15LoadWithoutCastENSD_16StoreWithoutCastEEEviT_T0_T2_T3_T4_T5_.has_dyn_sized_stack, or(0, .L_ZN2at6native25elementwise_kernel_helperILb0EZZZNS0_12_GLOBAL__N_130modified_bessel_i1_kernel_cudaERNS_18TensorIteratorBaseEENKUlvE_clEvENKUlvE_clEvEUldE_NS0_6memory8policies11unroll_baseILi256ESt5arrayIPcLm2EE23TrivialOffsetCalculatorILi1EjESF_NS8_15LoadWithoutCastENS8_16StoreWithoutCastELi4ELi1EEEEEvT0_T1_.has_dyn_sized_stack)
	.set _ZN2at6native27unrolled_elementwise_kernelIZZZNS0_12_GLOBAL__N_130modified_bessel_i1_kernel_cudaERNS_18TensorIteratorBaseEENKUlvE_clEvENKUlvE_clEvEUldE_St5arrayIPcLm2EELi4E23TrivialOffsetCalculatorILi1EjESC_NS0_6memory15LoadWithoutCastENSD_16StoreWithoutCastEEEviT_T0_T2_T3_T4_T5_.has_recursion, or(0, .L_ZN2at6native25elementwise_kernel_helperILb0EZZZNS0_12_GLOBAL__N_130modified_bessel_i1_kernel_cudaERNS_18TensorIteratorBaseEENKUlvE_clEvENKUlvE_clEvEUldE_NS0_6memory8policies11unroll_baseILi256ESt5arrayIPcLm2EE23TrivialOffsetCalculatorILi1EjESF_NS8_15LoadWithoutCastENS8_16StoreWithoutCastELi4ELi1EEEEEvT0_T1_.has_recursion)
	.set _ZN2at6native27unrolled_elementwise_kernelIZZZNS0_12_GLOBAL__N_130modified_bessel_i1_kernel_cudaERNS_18TensorIteratorBaseEENKUlvE_clEvENKUlvE_clEvEUldE_St5arrayIPcLm2EELi4E23TrivialOffsetCalculatorILi1EjESC_NS0_6memory15LoadWithoutCastENSD_16StoreWithoutCastEEEviT_T0_T2_T3_T4_T5_.has_indirect_call, or(0, .L_ZN2at6native25elementwise_kernel_helperILb0EZZZNS0_12_GLOBAL__N_130modified_bessel_i1_kernel_cudaERNS_18TensorIteratorBaseEENKUlvE_clEvENKUlvE_clEvEUldE_NS0_6memory8policies11unroll_baseILi256ESt5arrayIPcLm2EE23TrivialOffsetCalculatorILi1EjESF_NS8_15LoadWithoutCastENS8_16StoreWithoutCastELi4ELi1EEEEEvT0_T1_.has_indirect_call)
	.section	.AMDGPU.csdata,"",@progbits
; Kernel info:
; codeLenInByte = 96
; TotalNumSgprs: 37
; NumVgprs: 32
; ScratchSize: 0
; MemoryBound: 0
; FloatMode: 240
; IeeeMode: 1
; LDSByteSize: 0 bytes/workgroup (compile time only)
; SGPRBlocks: 4
; VGPRBlocks: 7
; NumSGPRsForWavesPerEU: 37
; NumVGPRsForWavesPerEU: 32
; Occupancy: 8
; WaveLimiterHint : 0
; COMPUTE_PGM_RSRC2:SCRATCH_EN: 0
; COMPUTE_PGM_RSRC2:USER_SGPR: 6
; COMPUTE_PGM_RSRC2:TRAP_HANDLER: 0
; COMPUTE_PGM_RSRC2:TGID_X_EN: 1
; COMPUTE_PGM_RSRC2:TGID_Y_EN: 0
; COMPUTE_PGM_RSRC2:TGID_Z_EN: 0
; COMPUTE_PGM_RSRC2:TIDIG_COMP_CNT: 0
	.section	.text._ZN2at6native32elementwise_kernel_manual_unrollILi128ELi4EZNS0_22gpu_kernel_impl_nocastIZZZNS0_12_GLOBAL__N_130modified_bessel_i1_kernel_cudaERNS_18TensorIteratorBaseEENKUlvE_clEvENKUlvE_clEvEUldE_EEvS5_RKT_EUlibE_EEviT1_,"axG",@progbits,_ZN2at6native32elementwise_kernel_manual_unrollILi128ELi4EZNS0_22gpu_kernel_impl_nocastIZZZNS0_12_GLOBAL__N_130modified_bessel_i1_kernel_cudaERNS_18TensorIteratorBaseEENKUlvE_clEvENKUlvE_clEvEUldE_EEvS5_RKT_EUlibE_EEviT1_,comdat
	.globl	_ZN2at6native32elementwise_kernel_manual_unrollILi128ELi4EZNS0_22gpu_kernel_impl_nocastIZZZNS0_12_GLOBAL__N_130modified_bessel_i1_kernel_cudaERNS_18TensorIteratorBaseEENKUlvE_clEvENKUlvE_clEvEUldE_EEvS5_RKT_EUlibE_EEviT1_ ; -- Begin function _ZN2at6native32elementwise_kernel_manual_unrollILi128ELi4EZNS0_22gpu_kernel_impl_nocastIZZZNS0_12_GLOBAL__N_130modified_bessel_i1_kernel_cudaERNS_18TensorIteratorBaseEENKUlvE_clEvENKUlvE_clEvEUldE_EEvS5_RKT_EUlibE_EEviT1_
	.p2align	8
	.type	_ZN2at6native32elementwise_kernel_manual_unrollILi128ELi4EZNS0_22gpu_kernel_impl_nocastIZZZNS0_12_GLOBAL__N_130modified_bessel_i1_kernel_cudaERNS_18TensorIteratorBaseEENKUlvE_clEvENKUlvE_clEvEUldE_EEvS5_RKT_EUlibE_EEviT1_,@function
_ZN2at6native32elementwise_kernel_manual_unrollILi128ELi4EZNS0_22gpu_kernel_impl_nocastIZZZNS0_12_GLOBAL__N_130modified_bessel_i1_kernel_cudaERNS_18TensorIteratorBaseEENKUlvE_clEvENKUlvE_clEvEUldE_EEvS5_RKT_EUlibE_EEviT1_: ; @_ZN2at6native32elementwise_kernel_manual_unrollILi128ELi4EZNS0_22gpu_kernel_impl_nocastIZZZNS0_12_GLOBAL__N_130modified_bessel_i1_kernel_cudaERNS_18TensorIteratorBaseEENKUlvE_clEvENKUlvE_clEvEUldE_EEvS5_RKT_EUlibE_EEviT1_
; %bb.0:
	s_load_dword s55, s[4:5], 0x0
	s_load_dword s33, s[4:5], 0x8
	s_add_u32 s34, s4, 8
	s_addc_u32 s35, s5, 0
	v_lshl_or_b32 v9, s6, 9, v0
	v_or_b32_e32 v12, 0x180, v9
	s_waitcnt lgkmcnt(0)
	s_add_i32 s54, s33, -1
	s_cmp_gt_u32 s54, 1
	v_cmp_le_i32_e32 vcc, s55, v12
	s_cselect_b64 s[36:37], -1, 0
	s_and_saveexec_b64 s[0:1], vcc
	s_xor_b64 s[38:39], exec, s[0:1]
	s_cbranch_execz .LBB7_7
; %bb.1:
	s_load_dwordx4 s[24:27], s[34:35], 0x4
	s_load_dwordx2 s[40:41], s[34:35], 0x14
	s_load_dwordx4 s[20:23], s[34:35], 0xc4
	s_load_dwordx4 s[16:19], s[34:35], 0x148
	s_cmp_lg_u32 s33, 0
	s_cselect_b64 s[46:47], -1, 0
	s_add_u32 s44, s34, 0xc4
	s_addc_u32 s45, s35, 0
	s_min_u32 s56, s54, 15
	s_cmp_gt_u32 s33, 1
	s_cselect_b64 s[42:43], -1, 0
	v_cmp_gt_i32_e32 vcc, s55, v9
	s_and_saveexec_b64 s[48:49], vcc
	s_cbranch_execz .LBB7_14
; %bb.2:
	s_andn2_b64 vcc, exec, s[36:37]
	s_cbranch_vccnz .LBB7_21
; %bb.3:
	s_andn2_b64 vcc, exec, s[46:47]
	s_cbranch_vccnz .LBB7_121
; %bb.4:
	s_add_i32 s58, s56, 1
	s_cmp_eq_u32 s54, 2
	s_cbranch_scc1 .LBB7_123
; %bb.5:
	s_and_b32 s57, s58, 28
	v_mov_b32_e32 v2, 0
	s_mov_b32 s59, 0
	s_mov_b64 s[50:51], s[34:35]
	s_mov_b64 s[52:53], s[44:45]
	v_mov_b32_e32 v0, 0
	v_mov_b32_e32 v1, v9
.LBB7_6:                                ; =>This Inner Loop Header: Depth=1
	s_load_dwordx8 s[8:15], s[50:51], 0x4
	s_load_dwordx4 s[28:31], s[50:51], 0x24
	s_load_dwordx8 s[0:7], s[52:53], 0x0
	s_add_u32 s50, s50, 48
	s_addc_u32 s51, s51, 0
	s_waitcnt lgkmcnt(0)
	v_mul_hi_u32 v3, s9, v1
	s_add_i32 s59, s59, 4
	s_add_u32 s52, s52, 32
	s_addc_u32 s53, s53, 0
	v_add_u32_e32 v3, v1, v3
	v_lshrrev_b32_e32 v3, s10, v3
	v_mul_lo_u32 v4, v3, s8
	v_mul_hi_u32 v5, s12, v3
	s_cmp_lg_u32 s57, s59
	v_sub_u32_e32 v1, v1, v4
	v_add_u32_e32 v4, v3, v5
	v_mul_lo_u32 v5, v1, s0
	v_mul_lo_u32 v6, v1, s1
	v_lshrrev_b32_e32 v1, s13, v4
	v_mul_lo_u32 v4, v1, s11
	v_mul_hi_u32 v7, s15, v1
	v_sub_u32_e32 v3, v3, v4
	v_add_u32_e32 v4, v1, v7
	v_lshrrev_b32_e32 v4, s28, v4
	v_mul_hi_u32 v8, s30, v4
	v_mul_lo_u32 v10, v4, s14
	v_mul_lo_u32 v7, v3, s2
	;; [unrolled: 1-line block ×3, first 2 shown]
	v_sub_u32_e32 v10, v1, v10
	v_add_u32_e32 v1, v4, v8
	v_lshrrev_b32_e32 v1, s31, v1
	v_mul_lo_u32 v8, v1, s29
	v_mul_lo_u32 v11, v10, s4
	;; [unrolled: 1-line block ×3, first 2 shown]
	v_add3_u32 v0, v5, v0, v7
	v_sub_u32_e32 v4, v4, v8
	v_mul_lo_u32 v8, v4, s6
	v_mul_lo_u32 v4, v4, s7
	v_add3_u32 v2, v6, v2, v3
	v_add3_u32 v0, v11, v0, v8
	v_add3_u32 v2, v10, v2, v4
	s_cbranch_scc1 .LBB7_6
	s_branch .LBB7_124
.LBB7_7:
	s_andn2_saveexec_b64 s[0:1], s[38:39]
	s_cbranch_execz .LBB7_173
.LBB7_8:
	v_cndmask_b32_e64 v0, 0, 1, s[36:37]
	v_cmp_ne_u32_e64 s[0:1], 1, v0
	s_andn2_b64 vcc, exec, s[36:37]
	s_cbranch_vccnz .LBB7_20
; %bb.9:
	s_cmp_lg_u32 s33, 0
	s_waitcnt lgkmcnt(0)
	s_mov_b32 s26, 0
	s_cbranch_scc0 .LBB7_23
; %bb.10:
	s_min_u32 s27, s54, 15
	s_add_i32 s27, s27, 1
	s_cmp_eq_u32 s54, 2
	s_cbranch_scc1 .LBB7_24
; %bb.11:
	s_and_b32 s26, s27, 28
	s_add_u32 s2, s34, 0xc4
	s_addc_u32 s3, s35, 0
	v_mov_b32_e32 v7, 0
	s_mov_b32 s28, 0
	s_mov_b64 s[24:25], s[34:35]
	v_mov_b32_e32 v0, 0
	v_mov_b32_e32 v1, v9
.LBB7_12:                               ; =>This Inner Loop Header: Depth=1
	s_load_dwordx8 s[12:19], s[24:25], 0x4
	s_load_dwordx4 s[20:23], s[24:25], 0x24
	s_load_dwordx8 s[4:11], s[2:3], 0x0
	s_add_u32 s24, s24, 48
	s_addc_u32 s25, s25, 0
	s_waitcnt lgkmcnt(0)
	v_mul_hi_u32 v2, s13, v1
	s_add_i32 s28, s28, 4
	s_add_u32 s2, s2, 32
	s_addc_u32 s3, s3, 0
	v_add_u32_e32 v2, v1, v2
	v_lshrrev_b32_e32 v2, s14, v2
	v_mul_lo_u32 v3, v2, s12
	v_mul_hi_u32 v4, s16, v2
	s_cmp_lg_u32 s26, s28
	v_sub_u32_e32 v1, v1, v3
	v_add_u32_e32 v3, v2, v4
	v_mul_lo_u32 v4, v1, s4
	v_mul_lo_u32 v5, v1, s5
	v_lshrrev_b32_e32 v1, s17, v3
	v_mul_lo_u32 v3, v1, s15
	v_mul_hi_u32 v6, s19, v1
	v_sub_u32_e32 v2, v2, v3
	v_add_u32_e32 v3, v1, v6
	v_lshrrev_b32_e32 v3, s20, v3
	v_mul_hi_u32 v8, s22, v3
	v_mul_lo_u32 v10, v3, s18
	v_mul_lo_u32 v6, v2, s6
	;; [unrolled: 1-line block ×3, first 2 shown]
	v_sub_u32_e32 v10, v1, v10
	v_add_u32_e32 v1, v3, v8
	v_lshrrev_b32_e32 v1, s23, v1
	v_mul_lo_u32 v8, v1, s21
	v_mul_lo_u32 v11, v10, s8
	;; [unrolled: 1-line block ×3, first 2 shown]
	v_add3_u32 v0, v4, v0, v6
	v_sub_u32_e32 v3, v3, v8
	v_mul_lo_u32 v8, v3, s10
	v_mul_lo_u32 v3, v3, s11
	v_add3_u32 v2, v5, v7, v2
	v_add3_u32 v0, v11, v0, v8
	;; [unrolled: 1-line block ×3, first 2 shown]
	s_cbranch_scc1 .LBB7_12
; %bb.13:
	s_and_b32 s6, s27, 3
	s_cmp_eq_u32 s6, 0
	s_cbranch_scc0 .LBB7_25
	s_branch .LBB7_27
.LBB7_14:
	s_or_b64 exec, exec, s[48:49]
	v_cmp_gt_i32_e32 vcc, s55, v9
	s_and_saveexec_b64 s[48:49], vcc
	s_cbranch_execz .LBB7_143
.LBB7_15:
	s_andn2_b64 vcc, exec, s[36:37]
	s_cbranch_vccnz .LBB7_22
; %bb.16:
	s_andn2_b64 vcc, exec, s[46:47]
	s_cbranch_vccnz .LBB7_122
; %bb.17:
	s_add_i32 s58, s56, 1
	s_cmp_eq_u32 s54, 2
	s_cbranch_scc1 .LBB7_151
; %bb.18:
	s_and_b32 s57, s58, 28
	v_mov_b32_e32 v2, 0
	s_mov_b32 s59, 0
	s_mov_b64 s[50:51], s[34:35]
	s_mov_b64 s[52:53], s[44:45]
	v_mov_b32_e32 v0, 0
	v_mov_b32_e32 v1, v9
.LBB7_19:                               ; =>This Inner Loop Header: Depth=1
	s_load_dwordx8 s[8:15], s[50:51], 0x4
	s_load_dwordx4 s[28:31], s[50:51], 0x24
	s_load_dwordx8 s[0:7], s[52:53], 0x0
	s_add_u32 s50, s50, 48
	s_addc_u32 s51, s51, 0
	s_waitcnt lgkmcnt(0)
	v_mul_hi_u32 v3, s9, v1
	s_add_i32 s59, s59, 4
	s_add_u32 s52, s52, 32
	s_addc_u32 s53, s53, 0
	v_add_u32_e32 v3, v1, v3
	v_lshrrev_b32_e32 v3, s10, v3
	v_mul_lo_u32 v4, v3, s8
	v_mul_hi_u32 v5, s12, v3
	s_cmp_eq_u32 s57, s59
	v_sub_u32_e32 v1, v1, v4
	v_add_u32_e32 v4, v3, v5
	v_mul_lo_u32 v5, v1, s0
	v_mul_lo_u32 v6, v1, s1
	v_lshrrev_b32_e32 v1, s13, v4
	v_mul_lo_u32 v4, v1, s11
	v_mul_hi_u32 v7, s15, v1
	v_sub_u32_e32 v3, v3, v4
	v_add_u32_e32 v4, v1, v7
	v_lshrrev_b32_e32 v4, s28, v4
	v_mul_hi_u32 v8, s30, v4
	v_mul_lo_u32 v10, v4, s14
	v_mul_lo_u32 v7, v3, s2
	;; [unrolled: 1-line block ×3, first 2 shown]
	v_sub_u32_e32 v10, v1, v10
	v_add_u32_e32 v1, v4, v8
	v_lshrrev_b32_e32 v1, s31, v1
	v_mul_lo_u32 v8, v1, s29
	v_mul_lo_u32 v11, v10, s4
	;; [unrolled: 1-line block ×3, first 2 shown]
	v_add3_u32 v0, v5, v0, v7
	v_sub_u32_e32 v4, v4, v8
	v_mul_lo_u32 v8, v4, s6
	v_mul_lo_u32 v4, v4, s7
	v_add3_u32 v2, v6, v2, v3
	v_add3_u32 v0, v11, v0, v8
	;; [unrolled: 1-line block ×3, first 2 shown]
	s_cbranch_scc0 .LBB7_19
	s_branch .LBB7_152
.LBB7_20:
                                        ; implicit-def: $vgpr0
                                        ; implicit-def: $vgpr7
	s_branch .LBB7_28
.LBB7_21:
                                        ; implicit-def: $vgpr0
                                        ; implicit-def: $vgpr2
	s_branch .LBB7_128
.LBB7_22:
                                        ; implicit-def: $vgpr0
                                        ; implicit-def: $vgpr2
	s_branch .LBB7_156
.LBB7_23:
	v_mov_b32_e32 v0, 0
	v_mov_b32_e32 v7, 0
	s_branch .LBB7_27
.LBB7_24:
	v_mov_b32_e32 v0, 0
	v_mov_b32_e32 v7, 0
	;; [unrolled: 1-line block ×3, first 2 shown]
	s_and_b32 s6, s27, 3
	s_cmp_eq_u32 s6, 0
	s_cbranch_scc1 .LBB7_27
.LBB7_25:
	s_lshl_b32 s2, s26, 3
	s_add_u32 s2, s34, s2
	s_addc_u32 s3, s35, 0
	s_add_u32 s2, s2, 0xc4
	s_addc_u32 s3, s3, 0
	s_mul_i32 s4, s26, 12
	s_add_u32 s4, s34, s4
	s_addc_u32 s5, s35, 0
.LBB7_26:                               ; =>This Inner Loop Header: Depth=1
	s_load_dwordx2 s[8:9], s[4:5], 0x4
	s_load_dword s7, s[4:5], 0xc
	s_load_dwordx2 s[10:11], s[2:3], 0x0
	s_add_u32 s4, s4, 12
	s_addc_u32 s5, s5, 0
	s_waitcnt lgkmcnt(0)
	v_mul_hi_u32 v2, s9, v1
	s_add_u32 s2, s2, 8
	s_addc_u32 s3, s3, 0
	s_add_i32 s6, s6, -1
	v_add_u32_e32 v2, v1, v2
	v_lshrrev_b32_e32 v2, s7, v2
	v_mul_lo_u32 v3, v2, s8
	s_cmp_lg_u32 s6, 0
	v_sub_u32_e32 v3, v1, v3
	v_mad_u64_u32 v[0:1], s[8:9], v3, s10, v[0:1]
	v_mad_u64_u32 v[7:8], s[8:9], v3, s11, v[7:8]
	v_mov_b32_e32 v1, v2
	s_cbranch_scc1 .LBB7_26
.LBB7_27:
	s_cbranch_execnz .LBB7_30
.LBB7_28:
	s_load_dwordx4 s[4:7], s[34:35], 0x4
	s_load_dwordx2 s[2:3], s[34:35], 0xc4
	s_cmp_lt_u32 s33, 2
	s_waitcnt lgkmcnt(0)
	v_mul_hi_u32 v0, s5, v9
	v_add_u32_e32 v0, v9, v0
	v_lshrrev_b32_e32 v1, s6, v0
	v_mul_lo_u32 v0, v1, s4
	v_sub_u32_e32 v2, v9, v0
	v_mul_lo_u32 v0, v2, s2
	v_mul_lo_u32 v7, v2, s3
	s_cbranch_scc1 .LBB7_30
; %bb.29:
	s_load_dwordx4 s[4:7], s[34:35], 0x10
	s_load_dwordx2 s[2:3], s[34:35], 0xcc
	s_waitcnt lgkmcnt(0)
	v_mul_hi_u32 v2, s5, v1
	v_add_u32_e32 v2, v1, v2
	v_lshrrev_b32_e32 v2, s6, v2
	v_mul_lo_u32 v2, v2, s4
	v_sub_u32_e32 v2, v1, v2
	v_mad_u64_u32 v[0:1], s[4:5], v2, s2, v[0:1]
	v_mad_u64_u32 v[7:8], s[2:3], v2, s3, v[7:8]
.LBB7_30:
	s_and_b64 vcc, exec, s[0:1]
	v_add_u32_e32 v3, 0x80, v9
	s_cbranch_vccnz .LBB7_36
; %bb.31:
	s_cmp_lg_u32 s33, 0
	s_waitcnt lgkmcnt(0)
	s_mov_b32 s26, 0
	s_cbranch_scc0 .LBB7_37
; %bb.32:
	s_min_u32 s27, s54, 15
	s_add_i32 s27, s27, 1
	s_cmp_eq_u32 s54, 2
	s_cbranch_scc1 .LBB7_38
; %bb.33:
	s_and_b32 s26, s27, 28
	s_add_u32 s2, s34, 0xc4
	s_addc_u32 s3, s35, 0
	v_mov_b32_e32 v10, 0
	s_mov_b32 s28, 0
	s_mov_b64 s[24:25], s[34:35]
	v_mov_b32_e32 v1, 0
	v_mov_b32_e32 v2, v3
.LBB7_34:                               ; =>This Inner Loop Header: Depth=1
	s_load_dwordx8 s[12:19], s[24:25], 0x4
	s_load_dwordx4 s[20:23], s[24:25], 0x24
	s_load_dwordx8 s[4:11], s[2:3], 0x0
	s_add_u32 s24, s24, 48
	s_addc_u32 s25, s25, 0
	s_waitcnt lgkmcnt(0)
	v_mul_hi_u32 v4, s13, v2
	s_add_i32 s28, s28, 4
	s_add_u32 s2, s2, 32
	s_addc_u32 s3, s3, 0
	v_add_u32_e32 v4, v2, v4
	v_lshrrev_b32_e32 v4, s14, v4
	v_mul_lo_u32 v5, v4, s12
	v_mul_hi_u32 v6, s16, v4
	s_cmp_lg_u32 s26, s28
	v_sub_u32_e32 v2, v2, v5
	v_add_u32_e32 v5, v4, v6
	v_mul_lo_u32 v6, v2, s4
	v_mul_lo_u32 v8, v2, s5
	v_lshrrev_b32_e32 v2, s17, v5
	v_mul_lo_u32 v5, v2, s15
	v_mul_hi_u32 v11, s19, v2
	v_sub_u32_e32 v4, v4, v5
	v_add_u32_e32 v5, v2, v11
	v_lshrrev_b32_e32 v5, s20, v5
	v_mul_hi_u32 v13, s22, v5
	v_mul_lo_u32 v14, v5, s18
	v_mul_lo_u32 v11, v4, s6
	;; [unrolled: 1-line block ×3, first 2 shown]
	v_sub_u32_e32 v14, v2, v14
	v_add_u32_e32 v2, v5, v13
	v_lshrrev_b32_e32 v2, s23, v2
	v_mul_lo_u32 v13, v2, s21
	v_mul_lo_u32 v15, v14, s8
	;; [unrolled: 1-line block ×3, first 2 shown]
	v_add3_u32 v1, v6, v1, v11
	v_sub_u32_e32 v5, v5, v13
	v_mul_lo_u32 v13, v5, s10
	v_mul_lo_u32 v5, v5, s11
	v_add3_u32 v4, v8, v10, v4
	v_add3_u32 v1, v15, v1, v13
	;; [unrolled: 1-line block ×3, first 2 shown]
	s_cbranch_scc1 .LBB7_34
; %bb.35:
	s_and_b32 s6, s27, 3
	s_cmp_eq_u32 s6, 0
	s_cbranch_scc0 .LBB7_39
	s_branch .LBB7_41
.LBB7_36:
                                        ; implicit-def: $vgpr1
                                        ; implicit-def: $vgpr10
	s_branch .LBB7_42
.LBB7_37:
	v_mov_b32_e32 v1, 0
	v_mov_b32_e32 v10, 0
	s_branch .LBB7_41
.LBB7_38:
	v_mov_b32_e32 v1, 0
	v_mov_b32_e32 v10, 0
	;; [unrolled: 1-line block ×3, first 2 shown]
	s_and_b32 s6, s27, 3
	s_cmp_eq_u32 s6, 0
	s_cbranch_scc1 .LBB7_41
.LBB7_39:
	s_lshl_b32 s2, s26, 3
	s_add_u32 s2, s34, s2
	s_addc_u32 s3, s35, 0
	s_add_u32 s2, s2, 0xc4
	s_addc_u32 s3, s3, 0
	s_mul_i32 s4, s26, 12
	s_add_u32 s4, s34, s4
	s_addc_u32 s5, s35, 0
.LBB7_40:                               ; =>This Inner Loop Header: Depth=1
	s_load_dwordx2 s[8:9], s[4:5], 0x4
	s_load_dword s7, s[4:5], 0xc
	s_load_dwordx2 s[10:11], s[2:3], 0x0
	s_add_u32 s4, s4, 12
	s_addc_u32 s5, s5, 0
	s_waitcnt lgkmcnt(0)
	v_mul_hi_u32 v4, s9, v2
	s_add_u32 s2, s2, 8
	s_addc_u32 s3, s3, 0
	s_add_i32 s6, s6, -1
	v_add_u32_e32 v4, v2, v4
	v_lshrrev_b32_e32 v4, s7, v4
	v_mul_lo_u32 v5, v4, s8
	s_cmp_lg_u32 s6, 0
	v_sub_u32_e32 v5, v2, v5
	v_mad_u64_u32 v[1:2], s[8:9], v5, s10, v[1:2]
	v_mad_u64_u32 v[10:11], s[8:9], v5, s11, v[10:11]
	v_mov_b32_e32 v2, v4
	s_cbranch_scc1 .LBB7_40
.LBB7_41:
	s_cbranch_execnz .LBB7_44
.LBB7_42:
	s_load_dwordx4 s[4:7], s[34:35], 0x4
	s_load_dwordx2 s[2:3], s[34:35], 0xc4
	s_cmp_lt_u32 s33, 2
	s_waitcnt lgkmcnt(0)
	v_mul_hi_u32 v1, s5, v3
	v_add_u32_e32 v1, v3, v1
	v_lshrrev_b32_e32 v2, s6, v1
	v_mul_lo_u32 v1, v2, s4
	v_sub_u32_e32 v3, v3, v1
	v_mul_lo_u32 v1, v3, s2
	v_mul_lo_u32 v10, v3, s3
	s_cbranch_scc1 .LBB7_44
; %bb.43:
	s_load_dwordx4 s[4:7], s[34:35], 0x10
	s_load_dwordx2 s[2:3], s[34:35], 0xcc
	s_waitcnt lgkmcnt(0)
	v_mul_hi_u32 v3, s5, v2
	v_add_u32_e32 v3, v2, v3
	v_lshrrev_b32_e32 v3, s6, v3
	v_mul_lo_u32 v3, v3, s4
	v_sub_u32_e32 v3, v2, v3
	v_mad_u64_u32 v[1:2], s[4:5], v3, s2, v[1:2]
	v_mad_u64_u32 v[10:11], s[2:3], v3, s3, v[10:11]
.LBB7_44:
	s_and_b64 vcc, exec, s[0:1]
	v_add_u32_e32 v4, 0x100, v9
	s_cbranch_vccnz .LBB7_50
; %bb.45:
	s_cmp_lg_u32 s33, 0
	s_waitcnt lgkmcnt(0)
	s_mov_b32 s26, 0
	s_cbranch_scc0 .LBB7_51
; %bb.46:
	s_min_u32 s27, s54, 15
	s_add_i32 s27, s27, 1
	s_cmp_eq_u32 s54, 2
	s_cbranch_scc1 .LBB7_52
; %bb.47:
	s_and_b32 s26, s27, 28
	s_add_u32 s2, s34, 0xc4
	s_addc_u32 s3, s35, 0
	v_mov_b32_e32 v8, 0
	s_mov_b32 s28, 0
	s_mov_b64 s[24:25], s[34:35]
	v_mov_b32_e32 v2, 0
	v_mov_b32_e32 v3, v4
.LBB7_48:                               ; =>This Inner Loop Header: Depth=1
	s_load_dwordx8 s[12:19], s[24:25], 0x4
	s_load_dwordx4 s[20:23], s[24:25], 0x24
	s_load_dwordx8 s[4:11], s[2:3], 0x0
	s_add_u32 s24, s24, 48
	s_addc_u32 s25, s25, 0
	s_waitcnt lgkmcnt(0)
	v_mul_hi_u32 v5, s13, v3
	s_add_i32 s28, s28, 4
	s_add_u32 s2, s2, 32
	s_addc_u32 s3, s3, 0
	v_add_u32_e32 v5, v3, v5
	v_lshrrev_b32_e32 v5, s14, v5
	v_mul_lo_u32 v6, v5, s12
	v_mul_hi_u32 v9, s16, v5
	s_cmp_lg_u32 s26, s28
	v_sub_u32_e32 v3, v3, v6
	v_add_u32_e32 v6, v5, v9
	v_mul_lo_u32 v9, v3, s4
	v_mul_lo_u32 v11, v3, s5
	v_lshrrev_b32_e32 v3, s17, v6
	v_mul_lo_u32 v6, v3, s15
	v_mul_hi_u32 v13, s19, v3
	v_sub_u32_e32 v5, v5, v6
	v_add_u32_e32 v6, v3, v13
	v_lshrrev_b32_e32 v6, s20, v6
	v_mul_hi_u32 v14, s22, v6
	v_mul_lo_u32 v15, v6, s18
	v_mul_lo_u32 v13, v5, s6
	;; [unrolled: 1-line block ×3, first 2 shown]
	v_sub_u32_e32 v15, v3, v15
	v_add_u32_e32 v3, v6, v14
	v_lshrrev_b32_e32 v3, s23, v3
	v_mul_lo_u32 v14, v3, s21
	v_mul_lo_u32 v16, v15, s8
	;; [unrolled: 1-line block ×3, first 2 shown]
	v_add3_u32 v2, v9, v2, v13
	v_sub_u32_e32 v6, v6, v14
	v_mul_lo_u32 v14, v6, s10
	v_mul_lo_u32 v6, v6, s11
	v_add3_u32 v5, v11, v8, v5
	v_add3_u32 v2, v16, v2, v14
	;; [unrolled: 1-line block ×3, first 2 shown]
	s_cbranch_scc1 .LBB7_48
; %bb.49:
	s_and_b32 s6, s27, 3
	s_cmp_eq_u32 s6, 0
	s_cbranch_scc0 .LBB7_53
	s_branch .LBB7_55
.LBB7_50:
                                        ; implicit-def: $vgpr2
                                        ; implicit-def: $vgpr8
	s_branch .LBB7_56
.LBB7_51:
	v_mov_b32_e32 v2, 0
	v_mov_b32_e32 v8, 0
	s_branch .LBB7_55
.LBB7_52:
	v_mov_b32_e32 v2, 0
	v_mov_b32_e32 v8, 0
	;; [unrolled: 1-line block ×3, first 2 shown]
	s_and_b32 s6, s27, 3
	s_cmp_eq_u32 s6, 0
	s_cbranch_scc1 .LBB7_55
.LBB7_53:
	s_lshl_b32 s2, s26, 3
	s_add_u32 s2, s34, s2
	s_addc_u32 s3, s35, 0
	s_add_u32 s2, s2, 0xc4
	s_addc_u32 s3, s3, 0
	s_mul_i32 s4, s26, 12
	s_add_u32 s4, s34, s4
	s_addc_u32 s5, s35, 0
.LBB7_54:                               ; =>This Inner Loop Header: Depth=1
	s_load_dwordx2 s[8:9], s[4:5], 0x4
	s_load_dword s7, s[4:5], 0xc
	s_load_dwordx2 s[10:11], s[2:3], 0x0
	s_add_u32 s4, s4, 12
	s_addc_u32 s5, s5, 0
	s_waitcnt lgkmcnt(0)
	v_mul_hi_u32 v5, s9, v3
	s_add_u32 s2, s2, 8
	s_addc_u32 s3, s3, 0
	s_add_i32 s6, s6, -1
	v_add_u32_e32 v5, v3, v5
	v_lshrrev_b32_e32 v5, s7, v5
	v_mul_lo_u32 v6, v5, s8
	s_cmp_lg_u32 s6, 0
	v_sub_u32_e32 v6, v3, v6
	v_mad_u64_u32 v[2:3], s[8:9], v6, s10, v[2:3]
	v_mad_u64_u32 v[8:9], s[8:9], v6, s11, v[8:9]
	v_mov_b32_e32 v3, v5
	s_cbranch_scc1 .LBB7_54
.LBB7_55:
	s_cbranch_execnz .LBB7_58
.LBB7_56:
	s_load_dwordx4 s[4:7], s[34:35], 0x4
	s_load_dwordx2 s[2:3], s[34:35], 0xc4
	s_cmp_lt_u32 s33, 2
	s_waitcnt lgkmcnt(0)
	v_mul_hi_u32 v2, s5, v4
	v_add_u32_e32 v2, v4, v2
	v_lshrrev_b32_e32 v3, s6, v2
	v_mul_lo_u32 v2, v3, s4
	v_sub_u32_e32 v4, v4, v2
	v_mul_lo_u32 v2, v4, s2
	v_mul_lo_u32 v8, v4, s3
	s_cbranch_scc1 .LBB7_58
; %bb.57:
	s_load_dwordx4 s[4:7], s[34:35], 0x10
	s_load_dwordx2 s[2:3], s[34:35], 0xcc
	s_waitcnt lgkmcnt(0)
	v_mul_hi_u32 v4, s5, v3
	v_add_u32_e32 v4, v3, v4
	v_lshrrev_b32_e32 v4, s6, v4
	v_mul_lo_u32 v4, v4, s4
	v_sub_u32_e32 v4, v3, v4
	v_mad_u64_u32 v[2:3], s[4:5], v4, s2, v[2:3]
	v_mad_u64_u32 v[8:9], s[2:3], v4, s3, v[8:9]
.LBB7_58:
	s_and_b64 vcc, exec, s[0:1]
	s_cbranch_vccnz .LBB7_64
; %bb.59:
	s_cmp_lg_u32 s33, 0
	s_waitcnt lgkmcnt(0)
	s_mov_b32 s24, 0
	s_cbranch_scc0 .LBB7_65
; %bb.60:
	s_min_u32 s25, s54, 15
	s_add_i32 s25, s25, 1
	s_cmp_eq_u32 s54, 2
	s_cbranch_scc1 .LBB7_66
; %bb.61:
	s_and_b32 s24, s25, 28
	s_add_u32 s20, s34, 0xc4
	s_addc_u32 s21, s35, 0
	v_mov_b32_e32 v5, 0
	s_mov_b32 s26, 0
	s_mov_b64 s[22:23], s[34:35]
	v_mov_b32_e32 v3, 0
	v_mov_b32_e32 v4, v12
.LBB7_62:                               ; =>This Inner Loop Header: Depth=1
	s_load_dwordx8 s[8:15], s[22:23], 0x4
	s_load_dwordx4 s[16:19], s[22:23], 0x24
	s_load_dwordx8 s[0:7], s[20:21], 0x0
	s_add_u32 s22, s22, 48
	s_addc_u32 s23, s23, 0
	s_waitcnt lgkmcnt(0)
	v_mul_hi_u32 v6, s9, v4
	s_add_i32 s26, s26, 4
	s_add_u32 s20, s20, 32
	s_addc_u32 s21, s21, 0
	v_add_u32_e32 v6, v4, v6
	v_lshrrev_b32_e32 v6, s10, v6
	v_mul_lo_u32 v9, v6, s8
	v_mul_hi_u32 v11, s12, v6
	s_cmp_lg_u32 s24, s26
	v_sub_u32_e32 v4, v4, v9
	v_add_u32_e32 v9, v6, v11
	v_mul_lo_u32 v11, v4, s0
	v_mul_lo_u32 v13, v4, s1
	v_lshrrev_b32_e32 v4, s13, v9
	v_mul_lo_u32 v9, v4, s11
	v_mul_hi_u32 v14, s15, v4
	v_sub_u32_e32 v6, v6, v9
	v_add_u32_e32 v9, v4, v14
	v_lshrrev_b32_e32 v9, s16, v9
	v_mul_hi_u32 v15, s18, v9
	v_mul_lo_u32 v16, v9, s14
	v_mul_lo_u32 v14, v6, s2
	;; [unrolled: 1-line block ×3, first 2 shown]
	v_sub_u32_e32 v16, v4, v16
	v_add_u32_e32 v4, v9, v15
	v_lshrrev_b32_e32 v4, s19, v4
	v_mul_lo_u32 v15, v4, s17
	v_mul_lo_u32 v17, v16, s4
	;; [unrolled: 1-line block ×3, first 2 shown]
	v_add3_u32 v3, v11, v3, v14
	v_sub_u32_e32 v9, v9, v15
	v_mul_lo_u32 v15, v9, s6
	v_mul_lo_u32 v9, v9, s7
	v_add3_u32 v5, v13, v5, v6
	v_add3_u32 v3, v17, v3, v15
	;; [unrolled: 1-line block ×3, first 2 shown]
	s_cbranch_scc1 .LBB7_62
; %bb.63:
	s_and_b32 s4, s25, 3
	s_cmp_eq_u32 s4, 0
	s_cbranch_scc0 .LBB7_67
	s_branch .LBB7_69
.LBB7_64:
                                        ; implicit-def: $vgpr3
                                        ; implicit-def: $vgpr5
	s_branch .LBB7_70
.LBB7_65:
	v_mov_b32_e32 v3, 0
	v_mov_b32_e32 v5, 0
	s_branch .LBB7_69
.LBB7_66:
	v_mov_b32_e32 v3, 0
	v_mov_b32_e32 v5, 0
	;; [unrolled: 1-line block ×3, first 2 shown]
	s_and_b32 s4, s25, 3
	s_cmp_eq_u32 s4, 0
	s_cbranch_scc1 .LBB7_69
.LBB7_67:
	s_lshl_b32 s0, s24, 3
	s_add_u32 s0, s34, s0
	s_addc_u32 s1, s35, 0
	s_add_u32 s0, s0, 0xc4
	s_addc_u32 s1, s1, 0
	s_mul_i32 s2, s24, 12
	s_add_u32 s2, s34, s2
	s_addc_u32 s3, s35, 0
.LBB7_68:                               ; =>This Inner Loop Header: Depth=1
	s_load_dwordx2 s[6:7], s[2:3], 0x4
	s_load_dword s5, s[2:3], 0xc
	s_load_dwordx2 s[8:9], s[0:1], 0x0
	s_add_u32 s2, s2, 12
	s_addc_u32 s3, s3, 0
	s_waitcnt lgkmcnt(0)
	v_mul_hi_u32 v6, s7, v4
	s_add_u32 s0, s0, 8
	s_addc_u32 s1, s1, 0
	s_add_i32 s4, s4, -1
	v_add_u32_e32 v6, v4, v6
	v_lshrrev_b32_e32 v9, s5, v6
	v_mul_lo_u32 v6, v9, s6
	s_cmp_lg_u32 s4, 0
	v_sub_u32_e32 v6, v4, v6
	v_mad_u64_u32 v[3:4], s[6:7], v6, s8, v[3:4]
	v_mad_u64_u32 v[5:6], s[6:7], v6, s9, v[5:6]
	v_mov_b32_e32 v4, v9
	s_cbranch_scc1 .LBB7_68
.LBB7_69:
	s_cbranch_execnz .LBB7_72
.LBB7_70:
	s_load_dwordx4 s[0:3], s[34:35], 0x4
	s_load_dwordx2 s[4:5], s[34:35], 0xc4
	s_cmp_lt_u32 s33, 2
	s_waitcnt lgkmcnt(0)
	v_mul_hi_u32 v3, s1, v12
	v_add_u32_e32 v3, v12, v3
	v_lshrrev_b32_e32 v4, s2, v3
	v_mul_lo_u32 v3, v4, s0
	v_sub_u32_e32 v5, v12, v3
	v_mul_lo_u32 v3, v5, s4
	v_mul_lo_u32 v5, v5, s5
	s_cbranch_scc1 .LBB7_72
; %bb.71:
	s_load_dwordx4 s[0:3], s[34:35], 0x10
	s_load_dwordx2 s[4:5], s[34:35], 0xcc
	s_waitcnt lgkmcnt(0)
	v_mul_hi_u32 v6, s1, v4
	v_add_u32_e32 v6, v4, v6
	v_lshrrev_b32_e32 v6, s2, v6
	v_mul_lo_u32 v6, v6, s0
	v_sub_u32_e32 v6, v4, v6
	v_mad_u64_u32 v[3:4], s[0:1], v6, s4, v[3:4]
	v_mad_u64_u32 v[5:6], s[0:1], v6, s5, v[5:6]
.LBB7_72:
	s_load_dwordx4 s[4:7], s[34:35], 0x148
	s_mov_b32 s0, 0
	s_mov_b32 s1, 0x40200000
	s_waitcnt lgkmcnt(0)
	global_load_dwordx2 v[11:12], v7, s[6:7]
                                        ; implicit-def: $vgpr6_vgpr7
	s_waitcnt vmcnt(0)
	v_cmp_le_f64_e64 s[0:1], |v[11:12]|, s[0:1]
	s_and_saveexec_b64 s[2:3], s[0:1]
	s_xor_b64 s[0:1], exec, s[2:3]
	s_cbranch_execz .LBB7_78
; %bb.73:
	v_fma_f64 v[6:7], |v[11:12]|, 0.5, -2.0
	v_mov_b32_e32 v13, 0xc38a0576
	v_mov_b32_e32 v14, 0xbc7857d0
	s_mov_b32 s3, 0x3c499f2a
	s_mov_b32 s2, 0xc3c4014
	;; [unrolled: 1-line block ×4, first 2 shown]
	v_mov_b32_e32 v21, 0xfca7ab0c
	v_fma_f64 v[13:14], v[6:7], s[2:3], v[13:14]
	s_mov_b32 s3, 0xbc499f2a
	v_mov_b32_e32 v22, 0x3e928af3
	v_cmp_ngt_f64_e32 vcc, 0, v[11:12]
	v_fma_f64 v[15:16], v[6:7], v[13:14], s[2:3]
	s_mov_b32 s2, 0xe593bfac
	s_mov_b32 s3, 0x3ca663e3
	v_add_f64 v[15:16], v[15:16], s[2:3]
	s_mov_b32 s2, 0x7e0d1573
	s_mov_b32 s3, 0xbcd3eaaa
	v_fma_f64 v[13:14], v[6:7], v[15:16], -v[13:14]
	v_add_f64 v[13:14], v[13:14], s[2:3]
	s_mov_b32 s2, 0x615290c
	s_mov_b32 s3, 0x3d011d7f
	v_fma_f64 v[15:16], v[6:7], v[13:14], -v[15:16]
	;; [unrolled: 4-line block ×20, first 2 shown]
	v_add_f64 v[15:16], v[15:16], s[2:3]
	s_mov_b32 s2, 0x652b82fe
	s_mov_b32 s3, 0x3ff71547
	v_mul_f64 v[17:18], |v[11:12]|, s[2:3]
	s_mov_b32 s2, 0x7913a26a
	s_mov_b32 s3, 0xbf85a29f
	v_fma_f64 v[13:14], v[6:7], v[15:16], -v[13:14]
	v_rndne_f64_e32 v[17:18], v[17:18]
	v_add_f64 v[13:14], v[13:14], s[2:3]
	s_mov_b32 s2, 0xfefa39ef
	s_mov_b32 s3, 0xbfe62e42
	v_fma_f64 v[19:20], v[17:18], s[2:3], |v[11:12]|
	s_mov_b32 s2, 0xe7bb2349
	s_mov_b32 s3, 0x3f9951e3
	v_cvt_i32_f64_e32 v4, v[17:18]
	v_fma_f64 v[15:16], v[6:7], v[13:14], -v[15:16]
	v_fma_f64 v[19:20], v[17:18], s[8:9], v[19:20]
	s_mov_b32 s8, 0x623fde64
	s_mov_b32 s9, 0x3ec71dee
	v_add_f64 v[15:16], v[15:16], s[2:3]
	s_mov_b32 s2, 0x6a5dcb37
	s_mov_b32 s3, 0x3e5ade15
	v_fma_f64 v[21:22], v[19:20], s[2:3], v[21:22]
	s_mov_b32 s2, 0x537c9ebc
	s_mov_b32 s3, 0xbfab1bbc
	v_fma_f64 v[13:14], v[6:7], v[15:16], -v[13:14]
	v_fma_f64 v[21:22], v[19:20], v[21:22], s[8:9]
	s_mov_b32 s8, 0x14761f6e
	s_mov_b32 s9, 0x3f2a01a0
	v_add_f64 v[13:14], v[13:14], s[2:3]
	s_mov_b32 s2, 0x7c89e6b0
	s_mov_b32 s3, 0x3efa0199
	v_fma_f64 v[21:22], v[19:20], v[21:22], s[2:3]
	s_mov_b32 s2, 0xd536f53c
	s_mov_b32 s3, 0x3fba46da
	v_fma_f64 v[15:16], v[6:7], v[13:14], -v[15:16]
	v_fma_f64 v[21:22], v[19:20], v[21:22], s[8:9]
	s_mov_b32 s8, 0x11122322
	s_mov_b32 s9, 0x3f811111
	v_add_f64 v[15:16], v[15:16], s[2:3]
	s_mov_b32 s2, 0x1852b7b0
	s_mov_b32 s3, 0x3f56c16c
	v_fma_f64 v[21:22], v[19:20], v[21:22], s[2:3]
	s_mov_b32 s2, 0x469192e
	s_mov_b32 s3, 0xbfc694d1
	v_fma_f64 v[13:14], v[6:7], v[15:16], -v[13:14]
	v_fma_f64 v[21:22], v[19:20], v[21:22], s[8:9]
	s_mov_b32 s8, 0x55555511
	s_mov_b32 s9, 0x3fc55555
	v_add_f64 v[13:14], v[13:14], s[2:3]
	s_mov_b32 s2, 0x555502a1
	s_mov_b32 s3, 0x3fa55555
	v_fma_f64 v[6:7], v[6:7], v[13:14], -v[15:16]
	v_fma_f64 v[13:14], v[19:20], v[21:22], s[2:3]
	s_mov_b32 s2, 0x724a7ffa
	s_mov_b32 s3, 0x3fd02a63
	v_add_f64 v[6:7], v[6:7], s[2:3]
	v_fma_f64 v[13:14], v[19:20], v[13:14], s[8:9]
	s_mov_b32 s2, 11
	s_mov_b32 s3, 0x3fe00000
	v_add_f64 v[6:7], v[6:7], -v[15:16]
	v_fma_f64 v[13:14], v[19:20], v[13:14], s[2:3]
	v_mul_f64 v[6:7], v[6:7], 0.5
	v_fma_f64 v[15:16], v[19:20], v[13:14], 1.0
	v_mul_f64 v[13:14], |v[11:12]|, v[6:7]
	v_fma_f64 v[15:16], v[19:20], v[15:16], 1.0
                                        ; implicit-def: $vgpr6_vgpr7
	s_and_saveexec_b64 s[2:3], vcc
	s_xor_b64 s[2:3], exec, s[2:3]
	s_cbranch_execz .LBB7_75
; %bb.74:
	s_mov_b32 s8, 0
	s_mov_b32 s9, 0x40900000
	v_ldexp_f64 v[6:7], v[15:16], v4
	v_cmp_ngt_f64_e64 vcc, |v[11:12]|, s[8:9]
	v_mov_b32_e32 v4, 0x7ff00000
                                        ; implicit-def: $vgpr15_vgpr16
                                        ; implicit-def: $vgpr11_vgpr12
	v_cndmask_b32_e32 v7, v4, v7, vcc
	v_cndmask_b32_e32 v6, 0, v6, vcc
	v_mul_f64 v[6:7], v[6:7], v[13:14]
                                        ; implicit-def: $vgpr4
                                        ; implicit-def: $vgpr13_vgpr14
.LBB7_75:
	s_andn2_saveexec_b64 s[2:3], s[2:3]
	s_cbranch_execz .LBB7_77
; %bb.76:
	s_mov_b32 s8, 0
	s_mov_b32 s9, 0x40900000
	v_ldexp_f64 v[6:7], -v[15:16], v4
	v_cmp_ngt_f64_e64 vcc, |v[11:12]|, s[8:9]
	v_mov_b32_e32 v4, 0xfff00000
	v_cndmask_b32_e32 v7, v4, v7, vcc
	v_cndmask_b32_e32 v6, 0, v6, vcc
	v_mul_f64 v[6:7], v[6:7], v[13:14]
.LBB7_77:
	s_or_b64 exec, exec, s[2:3]
                                        ; implicit-def: $vgpr11_vgpr12
.LBB7_78:
	s_andn2_saveexec_b64 s[2:3], s[0:1]
	s_cbranch_execz .LBB7_84
; %bb.79:
	s_mov_b32 s0, 0
	v_and_b32_e32 v7, 0x7fffffff, v12
	v_mov_b32_e32 v6, v11
	s_mov_b32 s1, 0x40400000
	v_div_scale_f64 v[13:14], s[8:9], v[6:7], v[6:7], s[0:1]
	v_div_scale_f64 v[6:7], vcc, s[0:1], v[6:7], s[0:1]
	v_mov_b32_e32 v21, 0xfca7ab0c
	v_mov_b32_e32 v22, 0x3e928af3
	v_rcp_f64_e32 v[15:16], v[13:14]
	v_fma_f64 v[17:18], -v[13:14], v[15:16], 1.0
	v_fma_f64 v[15:16], v[15:16], v[17:18], v[15:16]
	v_fma_f64 v[17:18], -v[13:14], v[15:16], 1.0
	v_fma_f64 v[15:16], v[15:16], v[17:18], v[15:16]
	v_mul_f64 v[17:18], v[6:7], v[15:16]
	v_fma_f64 v[6:7], -v[13:14], v[17:18], v[6:7]
	v_mov_b32_e32 v13, 0xea87b950
	v_mov_b32_e32 v14, 0x3c545b8a
	v_div_fmas_f64 v[6:7], v[6:7], v[15:16], v[17:18]
	v_cmp_ngt_f64_e32 vcc, 0, v[11:12]
	v_div_fixup_f64 v[6:7], v[6:7], |v[11:12]|, s[0:1]
	s_mov_b32 s1, 0x3c61556d
	s_mov_b32 s0, 0xb352e8e6
	v_add_f64 v[6:7], v[6:7], -2.0
	v_fma_f64 v[13:14], v[6:7], s[0:1], v[13:14]
	s_mov_b32 s1, 0xbc61556d
	v_fma_f64 v[15:16], v[6:7], v[13:14], s[0:1]
	s_mov_b32 s0, 0xb2532277
	s_mov_b32 s1, 0xbc8acea3
	v_add_f64 v[15:16], v[15:16], s[0:1]
	s_mov_b32 s0, 0x9c773320
	s_mov_b32 s1, 0xbc82806c
	v_fma_f64 v[13:14], v[6:7], v[15:16], -v[13:14]
	v_add_f64 v[13:14], v[13:14], s[0:1]
	s_mov_b32 s0, 0xfceb588a
	s_mov_b32 s1, 0x3cb55915
	v_fma_f64 v[15:16], v[6:7], v[13:14], -v[15:16]
	;; [unrolled: 4-line block ×14, first 2 shown]
	v_add_f64 v[15:16], v[15:16], s[0:1]
	s_mov_b32 s0, 0x652b82fe
	s_mov_b32 s1, 0x3ff71547
	v_mul_f64 v[17:18], |v[11:12]|, s[0:1]
	s_mov_b32 s0, 0x5423dd80
	s_mov_b32 s1, 0xbe0334ca
	v_fma_f64 v[13:14], v[6:7], v[15:16], -v[13:14]
	v_rndne_f64_e32 v[17:18], v[17:18]
	v_add_f64 v[13:14], v[13:14], s[0:1]
	s_mov_b32 s0, 0xfefa39ef
	s_mov_b32 s1, 0xbfe62e42
	v_fma_f64 v[19:20], v[17:18], s[0:1], |v[11:12]|
	s_mov_b32 s0, 0x9ad53528
	s_mov_b32 s1, 0xbe30790b
	v_cvt_i32_f64_e32 v4, v[17:18]
	v_fma_f64 v[15:16], v[6:7], v[13:14], -v[15:16]
	v_add_f64 v[15:16], v[15:16], s[0:1]
	s_mov_b32 s0, 0x3b39803f
	s_mov_b32 s1, 0xbc7abc9e
	v_fma_f64 v[19:20], v[17:18], s[0:1], v[19:20]
	s_mov_b32 s0, 0x6a5dcb37
	s_mov_b32 s1, 0x3e5ade15
	v_fma_f64 v[13:14], v[6:7], v[15:16], -v[13:14]
	v_fma_f64 v[21:22], v[19:20], s[0:1], v[21:22]
	s_mov_b32 s0, 0x94bb46c1
	s_mov_b32 s1, 0xbe5c4153
	v_add_f64 v[13:14], v[13:14], s[0:1]
	s_mov_b32 s0, 0x623fde64
	s_mov_b32 s1, 0x3ec71dee
	v_fma_f64 v[21:22], v[19:20], v[21:22], s[0:1]
	s_mov_b32 s0, 0x7c89e6b0
	s_mov_b32 s1, 0x3efa0199
	v_fma_f64 v[15:16], v[6:7], v[13:14], -v[15:16]
	v_fma_f64 v[21:22], v[19:20], v[21:22], s[0:1]
	s_mov_b32 s0, 0x2e9e5443
	s_mov_b32 s1, 0xbe90dbfd
	;; [unrolled: 10-line block ×5, first 2 shown]
	v_add_f64 v[13:14], v[13:14], s[0:1]
	s_mov_b32 s0, 0xb55b1514
	s_mov_b32 s1, 0x3fe8ea18
	v_fma_f64 v[21:22], v[19:20], v[21:22], 1.0
	v_fma_f64 v[6:7], v[6:7], v[13:14], -v[15:16]
	v_fma_f64 v[13:14], v[19:20], v[21:22], 1.0
	v_add_f64 v[6:7], v[6:7], s[0:1]
	s_mov_b32 s0, 0
	s_mov_b32 s1, 0x40900000
	v_ldexp_f64 v[13:14], v[13:14], v4
	v_cmp_ngt_f64_e64 s[0:1], |v[11:12]|, s[0:1]
	v_mov_b32_e32 v4, 0x7ff00000
	v_add_f64 v[15:16], v[6:7], -v[15:16]
                                        ; implicit-def: $vgpr6_vgpr7
	v_cndmask_b32_e64 v14, v4, v14, s[0:1]
	v_cndmask_b32_e64 v13, 0, v13, s[0:1]
	s_and_saveexec_b64 s[0:1], vcc
	s_xor_b64 s[0:1], exec, s[0:1]
	s_cbranch_execz .LBB7_81
; %bb.80:
	s_mov_b32 s8, 0
	s_brev_b32 s9, 8
	v_cmp_lt_f64_e64 vcc, |v[11:12]|, s[8:9]
	v_mov_b32_e32 v4, 0x100
	v_mul_f64 v[15:16], v[15:16], 0.5
	v_mov_b32_e32 v9, 0x260
	v_cndmask_b32_e32 v4, 0, v4, vcc
	v_ldexp_f64 v[6:7], |v[11:12]|, v4
	v_mov_b32_e32 v4, 0xffffff80
	v_cndmask_b32_e32 v4, 0, v4, vcc
	v_mul_f64 v[13:14], v[13:14], v[15:16]
	v_rsq_f64_e32 v[11:12], v[6:7]
	v_cmp_class_f64_e32 vcc, v[6:7], v9
	v_mul_f64 v[17:18], v[6:7], v[11:12]
	v_mul_f64 v[11:12], v[11:12], 0.5
	v_fma_f64 v[19:20], -v[11:12], v[17:18], 0.5
	v_fma_f64 v[17:18], v[17:18], v[19:20], v[17:18]
	v_fma_f64 v[11:12], v[11:12], v[19:20], v[11:12]
	v_fma_f64 v[19:20], -v[17:18], v[17:18], v[6:7]
	v_fma_f64 v[17:18], v[19:20], v[11:12], v[17:18]
	v_fma_f64 v[19:20], -v[17:18], v[17:18], v[6:7]
	v_fma_f64 v[11:12], v[19:20], v[11:12], v[17:18]
	v_ldexp_f64 v[11:12], v[11:12], v4
	v_cndmask_b32_e32 v7, v12, v7, vcc
	v_cndmask_b32_e32 v6, v11, v6, vcc
	v_div_scale_f64 v[11:12], s[8:9], v[6:7], v[6:7], v[13:14]
	v_div_scale_f64 v[19:20], vcc, v[13:14], v[6:7], v[13:14]
	v_rcp_f64_e32 v[15:16], v[11:12]
	v_fma_f64 v[17:18], -v[11:12], v[15:16], 1.0
	v_fma_f64 v[15:16], v[15:16], v[17:18], v[15:16]
	v_fma_f64 v[17:18], -v[11:12], v[15:16], 1.0
	v_fma_f64 v[15:16], v[15:16], v[17:18], v[15:16]
	v_mul_f64 v[17:18], v[19:20], v[15:16]
	v_fma_f64 v[11:12], -v[11:12], v[17:18], v[19:20]
	v_div_fmas_f64 v[11:12], v[11:12], v[15:16], v[17:18]
                                        ; implicit-def: $vgpr15_vgpr16
	v_div_fixup_f64 v[6:7], v[11:12], v[6:7], v[13:14]
                                        ; implicit-def: $vgpr11_vgpr12
                                        ; implicit-def: $vgpr13_vgpr14
.LBB7_81:
	s_andn2_saveexec_b64 s[0:1], s[0:1]
	s_cbranch_execz .LBB7_83
; %bb.82:
	s_mov_b32 s8, 0
	s_brev_b32 s9, 8
	v_cmp_lt_f64_e64 vcc, |v[11:12]|, s[8:9]
	v_mov_b32_e32 v4, 0x100
	v_mul_f64 v[15:16], v[15:16], -0.5
	v_mov_b32_e32 v9, 0x260
	v_cndmask_b32_e32 v4, 0, v4, vcc
	v_ldexp_f64 v[6:7], |v[11:12]|, v4
	v_mov_b32_e32 v4, 0xffffff80
	v_cndmask_b32_e32 v4, 0, v4, vcc
	v_mul_f64 v[13:14], v[13:14], v[15:16]
	v_rsq_f64_e32 v[11:12], v[6:7]
	v_cmp_class_f64_e32 vcc, v[6:7], v9
	v_mul_f64 v[17:18], v[6:7], v[11:12]
	v_mul_f64 v[11:12], v[11:12], 0.5
	v_fma_f64 v[19:20], -v[11:12], v[17:18], 0.5
	v_fma_f64 v[17:18], v[17:18], v[19:20], v[17:18]
	v_fma_f64 v[11:12], v[11:12], v[19:20], v[11:12]
	v_fma_f64 v[19:20], -v[17:18], v[17:18], v[6:7]
	v_fma_f64 v[17:18], v[19:20], v[11:12], v[17:18]
	v_fma_f64 v[19:20], -v[17:18], v[17:18], v[6:7]
	v_fma_f64 v[11:12], v[19:20], v[11:12], v[17:18]
	v_ldexp_f64 v[11:12], v[11:12], v4
	v_cndmask_b32_e32 v7, v12, v7, vcc
	v_cndmask_b32_e32 v6, v11, v6, vcc
	v_div_scale_f64 v[11:12], s[8:9], v[6:7], v[6:7], v[13:14]
	v_div_scale_f64 v[19:20], vcc, v[13:14], v[6:7], v[13:14]
	v_rcp_f64_e32 v[15:16], v[11:12]
	v_fma_f64 v[17:18], -v[11:12], v[15:16], 1.0
	v_fma_f64 v[15:16], v[15:16], v[17:18], v[15:16]
	v_fma_f64 v[17:18], -v[11:12], v[15:16], 1.0
	v_fma_f64 v[15:16], v[15:16], v[17:18], v[15:16]
	v_mul_f64 v[17:18], v[19:20], v[15:16]
	v_fma_f64 v[11:12], -v[11:12], v[17:18], v[19:20]
	v_div_fmas_f64 v[11:12], v[11:12], v[15:16], v[17:18]
	v_div_fixup_f64 v[6:7], v[11:12], v[6:7], v[13:14]
.LBB7_83:
	s_or_b64 exec, exec, s[0:1]
.LBB7_84:
	s_or_b64 exec, exec, s[2:3]
	global_load_dwordx2 v[11:12], v10, s[6:7]
	s_mov_b32 s0, 0
	s_mov_b32 s1, 0x40200000
                                        ; implicit-def: $vgpr9_vgpr10
	s_waitcnt vmcnt(0)
	v_cmp_le_f64_e64 s[0:1], |v[11:12]|, s[0:1]
	s_and_saveexec_b64 s[2:3], s[0:1]
	s_xor_b64 s[0:1], exec, s[2:3]
	s_cbranch_execz .LBB7_90
; %bb.85:
	v_fma_f64 v[9:10], |v[11:12]|, 0.5, -2.0
	v_mov_b32_e32 v13, 0xc38a0576
	v_mov_b32_e32 v14, 0xbc7857d0
	s_mov_b32 s3, 0x3c499f2a
	s_mov_b32 s2, 0xc3c4014
	;; [unrolled: 1-line block ×4, first 2 shown]
	v_mov_b32_e32 v21, 0xfca7ab0c
	v_fma_f64 v[13:14], v[9:10], s[2:3], v[13:14]
	s_mov_b32 s3, 0xbc499f2a
	v_mov_b32_e32 v22, 0x3e928af3
	v_cmp_ngt_f64_e32 vcc, 0, v[11:12]
	v_fma_f64 v[15:16], v[9:10], v[13:14], s[2:3]
	s_mov_b32 s2, 0xe593bfac
	s_mov_b32 s3, 0x3ca663e3
	v_add_f64 v[15:16], v[15:16], s[2:3]
	s_mov_b32 s2, 0x7e0d1573
	s_mov_b32 s3, 0xbcd3eaaa
	v_fma_f64 v[13:14], v[9:10], v[15:16], -v[13:14]
	v_add_f64 v[13:14], v[13:14], s[2:3]
	s_mov_b32 s2, 0x615290c
	s_mov_b32 s3, 0x3d011d7f
	v_fma_f64 v[15:16], v[9:10], v[13:14], -v[15:16]
	;; [unrolled: 4-line block ×20, first 2 shown]
	v_add_f64 v[15:16], v[15:16], s[2:3]
	s_mov_b32 s2, 0x652b82fe
	s_mov_b32 s3, 0x3ff71547
	v_mul_f64 v[17:18], |v[11:12]|, s[2:3]
	s_mov_b32 s2, 0x7913a26a
	s_mov_b32 s3, 0xbf85a29f
	v_fma_f64 v[13:14], v[9:10], v[15:16], -v[13:14]
	v_rndne_f64_e32 v[17:18], v[17:18]
	v_add_f64 v[13:14], v[13:14], s[2:3]
	s_mov_b32 s2, 0xfefa39ef
	s_mov_b32 s3, 0xbfe62e42
	v_fma_f64 v[19:20], v[17:18], s[2:3], |v[11:12]|
	s_mov_b32 s2, 0xe7bb2349
	s_mov_b32 s3, 0x3f9951e3
	v_cvt_i32_f64_e32 v4, v[17:18]
	v_fma_f64 v[15:16], v[9:10], v[13:14], -v[15:16]
	v_fma_f64 v[19:20], v[17:18], s[8:9], v[19:20]
	s_mov_b32 s8, 0x623fde64
	s_mov_b32 s9, 0x3ec71dee
	v_add_f64 v[15:16], v[15:16], s[2:3]
	s_mov_b32 s2, 0x6a5dcb37
	s_mov_b32 s3, 0x3e5ade15
	v_fma_f64 v[21:22], v[19:20], s[2:3], v[21:22]
	s_mov_b32 s2, 0x537c9ebc
	s_mov_b32 s3, 0xbfab1bbc
	v_fma_f64 v[13:14], v[9:10], v[15:16], -v[13:14]
	v_fma_f64 v[21:22], v[19:20], v[21:22], s[8:9]
	s_mov_b32 s8, 0x14761f6e
	s_mov_b32 s9, 0x3f2a01a0
	v_add_f64 v[13:14], v[13:14], s[2:3]
	s_mov_b32 s2, 0x7c89e6b0
	s_mov_b32 s3, 0x3efa0199
	v_fma_f64 v[21:22], v[19:20], v[21:22], s[2:3]
	s_mov_b32 s2, 0xd536f53c
	s_mov_b32 s3, 0x3fba46da
	;; [unrolled: 10-line block ×3, first 2 shown]
	v_fma_f64 v[13:14], v[9:10], v[15:16], -v[13:14]
	v_fma_f64 v[21:22], v[19:20], v[21:22], s[8:9]
	s_mov_b32 s8, 0x55555511
	s_mov_b32 s9, 0x3fc55555
	v_add_f64 v[13:14], v[13:14], s[2:3]
	s_mov_b32 s2, 0x555502a1
	s_mov_b32 s3, 0x3fa55555
	v_fma_f64 v[9:10], v[9:10], v[13:14], -v[15:16]
	v_fma_f64 v[13:14], v[19:20], v[21:22], s[2:3]
	s_mov_b32 s2, 0x724a7ffa
	s_mov_b32 s3, 0x3fd02a63
	v_add_f64 v[9:10], v[9:10], s[2:3]
	v_fma_f64 v[13:14], v[19:20], v[13:14], s[8:9]
	s_mov_b32 s2, 11
	s_mov_b32 s3, 0x3fe00000
	v_add_f64 v[9:10], v[9:10], -v[15:16]
	v_fma_f64 v[13:14], v[19:20], v[13:14], s[2:3]
	v_mul_f64 v[9:10], v[9:10], 0.5
	v_fma_f64 v[15:16], v[19:20], v[13:14], 1.0
	v_mul_f64 v[13:14], |v[11:12]|, v[9:10]
	v_fma_f64 v[15:16], v[19:20], v[15:16], 1.0
                                        ; implicit-def: $vgpr9_vgpr10
	s_and_saveexec_b64 s[2:3], vcc
	s_xor_b64 s[2:3], exec, s[2:3]
	s_cbranch_execz .LBB7_87
; %bb.86:
	s_mov_b32 s8, 0
	s_mov_b32 s9, 0x40900000
	v_ldexp_f64 v[9:10], v[15:16], v4
	v_cmp_ngt_f64_e64 vcc, |v[11:12]|, s[8:9]
	v_mov_b32_e32 v4, 0x7ff00000
                                        ; implicit-def: $vgpr15_vgpr16
                                        ; implicit-def: $vgpr11_vgpr12
	v_cndmask_b32_e32 v10, v4, v10, vcc
	v_cndmask_b32_e32 v9, 0, v9, vcc
	v_mul_f64 v[9:10], v[9:10], v[13:14]
                                        ; implicit-def: $vgpr4
                                        ; implicit-def: $vgpr13_vgpr14
.LBB7_87:
	s_andn2_saveexec_b64 s[2:3], s[2:3]
	s_cbranch_execz .LBB7_89
; %bb.88:
	s_mov_b32 s8, 0
	s_mov_b32 s9, 0x40900000
	v_ldexp_f64 v[9:10], -v[15:16], v4
	v_cmp_ngt_f64_e64 vcc, |v[11:12]|, s[8:9]
	v_mov_b32_e32 v4, 0xfff00000
	v_cndmask_b32_e32 v10, v4, v10, vcc
	v_cndmask_b32_e32 v9, 0, v9, vcc
	v_mul_f64 v[9:10], v[9:10], v[13:14]
.LBB7_89:
	s_or_b64 exec, exec, s[2:3]
                                        ; implicit-def: $vgpr11_vgpr12
.LBB7_90:
	s_andn2_saveexec_b64 s[2:3], s[0:1]
	s_cbranch_execz .LBB7_96
; %bb.91:
	s_mov_b32 s0, 0
	v_and_b32_e32 v10, 0x7fffffff, v12
	v_mov_b32_e32 v9, v11
	s_mov_b32 s1, 0x40400000
	v_div_scale_f64 v[13:14], s[8:9], v[9:10], v[9:10], s[0:1]
	v_div_scale_f64 v[9:10], vcc, s[0:1], v[9:10], s[0:1]
	v_mov_b32_e32 v21, 0xfca7ab0c
	v_mov_b32_e32 v22, 0x3e928af3
	v_rcp_f64_e32 v[15:16], v[13:14]
	v_fma_f64 v[17:18], -v[13:14], v[15:16], 1.0
	v_fma_f64 v[15:16], v[15:16], v[17:18], v[15:16]
	v_fma_f64 v[17:18], -v[13:14], v[15:16], 1.0
	v_fma_f64 v[15:16], v[15:16], v[17:18], v[15:16]
	v_mul_f64 v[17:18], v[9:10], v[15:16]
	v_fma_f64 v[9:10], -v[13:14], v[17:18], v[9:10]
	v_mov_b32_e32 v13, 0xea87b950
	v_mov_b32_e32 v14, 0x3c545b8a
	v_div_fmas_f64 v[9:10], v[9:10], v[15:16], v[17:18]
	v_cmp_ngt_f64_e32 vcc, 0, v[11:12]
	v_div_fixup_f64 v[9:10], v[9:10], |v[11:12]|, s[0:1]
	s_mov_b32 s1, 0x3c61556d
	s_mov_b32 s0, 0xb352e8e6
	v_add_f64 v[9:10], v[9:10], -2.0
	v_fma_f64 v[13:14], v[9:10], s[0:1], v[13:14]
	s_mov_b32 s1, 0xbc61556d
	v_fma_f64 v[15:16], v[9:10], v[13:14], s[0:1]
	s_mov_b32 s0, 0xb2532277
	s_mov_b32 s1, 0xbc8acea3
	v_add_f64 v[15:16], v[15:16], s[0:1]
	s_mov_b32 s0, 0x9c773320
	s_mov_b32 s1, 0xbc82806c
	v_fma_f64 v[13:14], v[9:10], v[15:16], -v[13:14]
	v_add_f64 v[13:14], v[13:14], s[0:1]
	s_mov_b32 s0, 0xfceb588a
	s_mov_b32 s1, 0x3cb55915
	v_fma_f64 v[15:16], v[9:10], v[13:14], -v[15:16]
	;; [unrolled: 4-line block ×14, first 2 shown]
	v_add_f64 v[15:16], v[15:16], s[0:1]
	s_mov_b32 s0, 0x652b82fe
	s_mov_b32 s1, 0x3ff71547
	v_mul_f64 v[17:18], |v[11:12]|, s[0:1]
	s_mov_b32 s0, 0x5423dd80
	s_mov_b32 s1, 0xbe0334ca
	v_fma_f64 v[13:14], v[9:10], v[15:16], -v[13:14]
	v_rndne_f64_e32 v[17:18], v[17:18]
	v_add_f64 v[13:14], v[13:14], s[0:1]
	s_mov_b32 s0, 0xfefa39ef
	s_mov_b32 s1, 0xbfe62e42
	v_fma_f64 v[19:20], v[17:18], s[0:1], |v[11:12]|
	s_mov_b32 s0, 0x9ad53528
	s_mov_b32 s1, 0xbe30790b
	v_cvt_i32_f64_e32 v4, v[17:18]
	v_fma_f64 v[15:16], v[9:10], v[13:14], -v[15:16]
	v_add_f64 v[15:16], v[15:16], s[0:1]
	s_mov_b32 s0, 0x3b39803f
	s_mov_b32 s1, 0xbc7abc9e
	v_fma_f64 v[19:20], v[17:18], s[0:1], v[19:20]
	s_mov_b32 s0, 0x6a5dcb37
	s_mov_b32 s1, 0x3e5ade15
	v_fma_f64 v[13:14], v[9:10], v[15:16], -v[13:14]
	v_fma_f64 v[21:22], v[19:20], s[0:1], v[21:22]
	s_mov_b32 s0, 0x94bb46c1
	s_mov_b32 s1, 0xbe5c4153
	v_add_f64 v[13:14], v[13:14], s[0:1]
	s_mov_b32 s0, 0x623fde64
	s_mov_b32 s1, 0x3ec71dee
	v_fma_f64 v[21:22], v[19:20], v[21:22], s[0:1]
	s_mov_b32 s0, 0x7c89e6b0
	s_mov_b32 s1, 0x3efa0199
	v_fma_f64 v[15:16], v[9:10], v[13:14], -v[15:16]
	v_fma_f64 v[21:22], v[19:20], v[21:22], s[0:1]
	s_mov_b32 s0, 0x2e9e5443
	s_mov_b32 s1, 0xbe90dbfd
	;; [unrolled: 10-line block ×5, first 2 shown]
	v_add_f64 v[13:14], v[13:14], s[0:1]
	s_mov_b32 s0, 0xb55b1514
	s_mov_b32 s1, 0x3fe8ea18
	v_fma_f64 v[21:22], v[19:20], v[21:22], 1.0
	v_fma_f64 v[9:10], v[9:10], v[13:14], -v[15:16]
	v_fma_f64 v[13:14], v[19:20], v[21:22], 1.0
	v_add_f64 v[9:10], v[9:10], s[0:1]
	s_mov_b32 s0, 0
	s_mov_b32 s1, 0x40900000
	v_ldexp_f64 v[13:14], v[13:14], v4
	v_cmp_ngt_f64_e64 s[0:1], |v[11:12]|, s[0:1]
	v_mov_b32_e32 v4, 0x7ff00000
	v_add_f64 v[15:16], v[9:10], -v[15:16]
                                        ; implicit-def: $vgpr9_vgpr10
	v_cndmask_b32_e64 v14, v4, v14, s[0:1]
	v_cndmask_b32_e64 v13, 0, v13, s[0:1]
	s_and_saveexec_b64 s[0:1], vcc
	s_xor_b64 s[0:1], exec, s[0:1]
	s_cbranch_execz .LBB7_93
; %bb.92:
	s_mov_b32 s8, 0
	s_brev_b32 s9, 8
	v_cmp_lt_f64_e64 vcc, |v[11:12]|, s[8:9]
	v_mov_b32_e32 v4, 0x100
	v_mul_f64 v[15:16], v[15:16], 0.5
	v_cndmask_b32_e32 v4, 0, v4, vcc
	v_ldexp_f64 v[9:10], |v[11:12]|, v4
	v_mov_b32_e32 v4, 0xffffff80
	v_cndmask_b32_e32 v4, 0, v4, vcc
	v_mul_f64 v[13:14], v[13:14], v[15:16]
	v_rsq_f64_e32 v[11:12], v[9:10]
	v_mul_f64 v[17:18], v[9:10], v[11:12]
	v_mul_f64 v[11:12], v[11:12], 0.5
	v_fma_f64 v[19:20], -v[11:12], v[17:18], 0.5
	v_fma_f64 v[17:18], v[17:18], v[19:20], v[17:18]
	v_fma_f64 v[11:12], v[11:12], v[19:20], v[11:12]
	v_fma_f64 v[19:20], -v[17:18], v[17:18], v[9:10]
	v_fma_f64 v[17:18], v[19:20], v[11:12], v[17:18]
	v_fma_f64 v[19:20], -v[17:18], v[17:18], v[9:10]
	v_fma_f64 v[11:12], v[19:20], v[11:12], v[17:18]
	v_mov_b32_e32 v17, 0x260
	v_cmp_class_f64_e32 vcc, v[9:10], v17
	v_ldexp_f64 v[11:12], v[11:12], v4
	v_cndmask_b32_e32 v10, v12, v10, vcc
	v_cndmask_b32_e32 v9, v11, v9, vcc
	v_div_scale_f64 v[11:12], s[8:9], v[9:10], v[9:10], v[13:14]
	v_div_scale_f64 v[19:20], vcc, v[13:14], v[9:10], v[13:14]
	v_rcp_f64_e32 v[15:16], v[11:12]
	v_fma_f64 v[17:18], -v[11:12], v[15:16], 1.0
	v_fma_f64 v[15:16], v[15:16], v[17:18], v[15:16]
	v_fma_f64 v[17:18], -v[11:12], v[15:16], 1.0
	v_fma_f64 v[15:16], v[15:16], v[17:18], v[15:16]
	v_mul_f64 v[17:18], v[19:20], v[15:16]
	v_fma_f64 v[11:12], -v[11:12], v[17:18], v[19:20]
	v_div_fmas_f64 v[11:12], v[11:12], v[15:16], v[17:18]
                                        ; implicit-def: $vgpr15_vgpr16
	v_div_fixup_f64 v[9:10], v[11:12], v[9:10], v[13:14]
                                        ; implicit-def: $vgpr11_vgpr12
                                        ; implicit-def: $vgpr13_vgpr14
.LBB7_93:
	s_andn2_saveexec_b64 s[0:1], s[0:1]
	s_cbranch_execz .LBB7_95
; %bb.94:
	s_mov_b32 s8, 0
	s_brev_b32 s9, 8
	v_cmp_lt_f64_e64 vcc, |v[11:12]|, s[8:9]
	v_mov_b32_e32 v4, 0x100
	v_mul_f64 v[15:16], v[15:16], -0.5
	v_cndmask_b32_e32 v4, 0, v4, vcc
	v_ldexp_f64 v[9:10], |v[11:12]|, v4
	v_mov_b32_e32 v4, 0xffffff80
	v_cndmask_b32_e32 v4, 0, v4, vcc
	v_mul_f64 v[13:14], v[13:14], v[15:16]
	v_rsq_f64_e32 v[11:12], v[9:10]
	v_mul_f64 v[17:18], v[9:10], v[11:12]
	v_mul_f64 v[11:12], v[11:12], 0.5
	v_fma_f64 v[19:20], -v[11:12], v[17:18], 0.5
	v_fma_f64 v[17:18], v[17:18], v[19:20], v[17:18]
	v_fma_f64 v[11:12], v[11:12], v[19:20], v[11:12]
	v_fma_f64 v[19:20], -v[17:18], v[17:18], v[9:10]
	v_fma_f64 v[17:18], v[19:20], v[11:12], v[17:18]
	v_fma_f64 v[19:20], -v[17:18], v[17:18], v[9:10]
	v_fma_f64 v[11:12], v[19:20], v[11:12], v[17:18]
	v_mov_b32_e32 v17, 0x260
	v_cmp_class_f64_e32 vcc, v[9:10], v17
	v_ldexp_f64 v[11:12], v[11:12], v4
	v_cndmask_b32_e32 v10, v12, v10, vcc
	v_cndmask_b32_e32 v9, v11, v9, vcc
	v_div_scale_f64 v[11:12], s[8:9], v[9:10], v[9:10], v[13:14]
	v_div_scale_f64 v[19:20], vcc, v[13:14], v[9:10], v[13:14]
	v_rcp_f64_e32 v[15:16], v[11:12]
	v_fma_f64 v[17:18], -v[11:12], v[15:16], 1.0
	v_fma_f64 v[15:16], v[15:16], v[17:18], v[15:16]
	v_fma_f64 v[17:18], -v[11:12], v[15:16], 1.0
	v_fma_f64 v[15:16], v[15:16], v[17:18], v[15:16]
	v_mul_f64 v[17:18], v[19:20], v[15:16]
	v_fma_f64 v[11:12], -v[11:12], v[17:18], v[19:20]
	v_div_fmas_f64 v[11:12], v[11:12], v[15:16], v[17:18]
	v_div_fixup_f64 v[9:10], v[11:12], v[9:10], v[13:14]
.LBB7_95:
	s_or_b64 exec, exec, s[0:1]
.LBB7_96:
	s_or_b64 exec, exec, s[2:3]
	global_load_dwordx2 v[13:14], v8, s[6:7]
	s_mov_b32 s0, 0
	s_mov_b32 s1, 0x40200000
                                        ; implicit-def: $vgpr11_vgpr12
	s_waitcnt vmcnt(0)
	v_cmp_le_f64_e64 s[0:1], |v[13:14]|, s[0:1]
	s_and_saveexec_b64 s[2:3], s[0:1]
	s_xor_b64 s[0:1], exec, s[2:3]
	s_cbranch_execz .LBB7_102
; %bb.97:
	v_fma_f64 v[11:12], |v[13:14]|, 0.5, -2.0
	v_mov_b32_e32 v15, 0xc38a0576
	v_mov_b32_e32 v16, 0xbc7857d0
	s_mov_b32 s3, 0x3c499f2a
	s_mov_b32 s2, 0xc3c4014
	;; [unrolled: 1-line block ×4, first 2 shown]
	v_mov_b32_e32 v23, 0xfca7ab0c
	v_fma_f64 v[15:16], v[11:12], s[2:3], v[15:16]
	s_mov_b32 s3, 0xbc499f2a
	v_mov_b32_e32 v24, 0x3e928af3
	v_cmp_ngt_f64_e32 vcc, 0, v[13:14]
	v_fma_f64 v[17:18], v[11:12], v[15:16], s[2:3]
	s_mov_b32 s2, 0xe593bfac
	s_mov_b32 s3, 0x3ca663e3
	v_add_f64 v[17:18], v[17:18], s[2:3]
	s_mov_b32 s2, 0x7e0d1573
	s_mov_b32 s3, 0xbcd3eaaa
	v_fma_f64 v[15:16], v[11:12], v[17:18], -v[15:16]
	v_add_f64 v[15:16], v[15:16], s[2:3]
	s_mov_b32 s2, 0x615290c
	s_mov_b32 s3, 0x3d011d7f
	v_fma_f64 v[17:18], v[11:12], v[15:16], -v[17:18]
	;; [unrolled: 4-line block ×20, first 2 shown]
	v_add_f64 v[17:18], v[17:18], s[2:3]
	s_mov_b32 s2, 0x652b82fe
	s_mov_b32 s3, 0x3ff71547
	v_mul_f64 v[19:20], |v[13:14]|, s[2:3]
	s_mov_b32 s2, 0x7913a26a
	s_mov_b32 s3, 0xbf85a29f
	v_fma_f64 v[15:16], v[11:12], v[17:18], -v[15:16]
	v_rndne_f64_e32 v[19:20], v[19:20]
	v_add_f64 v[15:16], v[15:16], s[2:3]
	s_mov_b32 s2, 0xfefa39ef
	s_mov_b32 s3, 0xbfe62e42
	v_fma_f64 v[21:22], v[19:20], s[2:3], |v[13:14]|
	s_mov_b32 s2, 0xe7bb2349
	s_mov_b32 s3, 0x3f9951e3
	v_cvt_i32_f64_e32 v4, v[19:20]
	v_fma_f64 v[17:18], v[11:12], v[15:16], -v[17:18]
	v_fma_f64 v[21:22], v[19:20], s[8:9], v[21:22]
	s_mov_b32 s8, 0x623fde64
	s_mov_b32 s9, 0x3ec71dee
	v_add_f64 v[17:18], v[17:18], s[2:3]
	s_mov_b32 s2, 0x6a5dcb37
	s_mov_b32 s3, 0x3e5ade15
	v_fma_f64 v[23:24], v[21:22], s[2:3], v[23:24]
	s_mov_b32 s2, 0x537c9ebc
	s_mov_b32 s3, 0xbfab1bbc
	v_fma_f64 v[15:16], v[11:12], v[17:18], -v[15:16]
	v_fma_f64 v[23:24], v[21:22], v[23:24], s[8:9]
	s_mov_b32 s8, 0x14761f6e
	s_mov_b32 s9, 0x3f2a01a0
	v_add_f64 v[15:16], v[15:16], s[2:3]
	s_mov_b32 s2, 0x7c89e6b0
	s_mov_b32 s3, 0x3efa0199
	v_fma_f64 v[23:24], v[21:22], v[23:24], s[2:3]
	s_mov_b32 s2, 0xd536f53c
	s_mov_b32 s3, 0x3fba46da
	;; [unrolled: 10-line block ×3, first 2 shown]
	v_fma_f64 v[15:16], v[11:12], v[17:18], -v[15:16]
	v_fma_f64 v[23:24], v[21:22], v[23:24], s[8:9]
	s_mov_b32 s8, 0x55555511
	s_mov_b32 s9, 0x3fc55555
	v_add_f64 v[15:16], v[15:16], s[2:3]
	s_mov_b32 s2, 0x555502a1
	s_mov_b32 s3, 0x3fa55555
	v_fma_f64 v[11:12], v[11:12], v[15:16], -v[17:18]
	v_fma_f64 v[15:16], v[21:22], v[23:24], s[2:3]
	s_mov_b32 s2, 0x724a7ffa
	s_mov_b32 s3, 0x3fd02a63
	v_add_f64 v[11:12], v[11:12], s[2:3]
	v_fma_f64 v[15:16], v[21:22], v[15:16], s[8:9]
	s_mov_b32 s2, 11
	s_mov_b32 s3, 0x3fe00000
	v_add_f64 v[11:12], v[11:12], -v[17:18]
	v_fma_f64 v[15:16], v[21:22], v[15:16], s[2:3]
	v_mul_f64 v[11:12], v[11:12], 0.5
	v_fma_f64 v[17:18], v[21:22], v[15:16], 1.0
	v_mul_f64 v[15:16], |v[13:14]|, v[11:12]
	v_fma_f64 v[17:18], v[21:22], v[17:18], 1.0
                                        ; implicit-def: $vgpr11_vgpr12
	s_and_saveexec_b64 s[2:3], vcc
	s_xor_b64 s[2:3], exec, s[2:3]
	s_cbranch_execz .LBB7_99
; %bb.98:
	s_mov_b32 s8, 0
	s_mov_b32 s9, 0x40900000
	v_ldexp_f64 v[11:12], v[17:18], v4
	v_cmp_ngt_f64_e64 vcc, |v[13:14]|, s[8:9]
	v_mov_b32_e32 v4, 0x7ff00000
                                        ; implicit-def: $vgpr17_vgpr18
                                        ; implicit-def: $vgpr13_vgpr14
	v_cndmask_b32_e32 v12, v4, v12, vcc
	v_cndmask_b32_e32 v11, 0, v11, vcc
	v_mul_f64 v[11:12], v[11:12], v[15:16]
                                        ; implicit-def: $vgpr4
                                        ; implicit-def: $vgpr15_vgpr16
.LBB7_99:
	s_andn2_saveexec_b64 s[2:3], s[2:3]
	s_cbranch_execz .LBB7_101
; %bb.100:
	s_mov_b32 s8, 0
	s_mov_b32 s9, 0x40900000
	v_ldexp_f64 v[11:12], -v[17:18], v4
	v_cmp_ngt_f64_e64 vcc, |v[13:14]|, s[8:9]
	v_mov_b32_e32 v4, 0xfff00000
	v_cndmask_b32_e32 v12, v4, v12, vcc
	v_cndmask_b32_e32 v11, 0, v11, vcc
	v_mul_f64 v[11:12], v[11:12], v[15:16]
.LBB7_101:
	s_or_b64 exec, exec, s[2:3]
                                        ; implicit-def: $vgpr13_vgpr14
.LBB7_102:
	s_andn2_saveexec_b64 s[2:3], s[0:1]
	s_cbranch_execz .LBB7_108
; %bb.103:
	s_mov_b32 s0, 0
	v_and_b32_e32 v12, 0x7fffffff, v14
	v_mov_b32_e32 v11, v13
	s_mov_b32 s1, 0x40400000
	v_div_scale_f64 v[15:16], s[8:9], v[11:12], v[11:12], s[0:1]
	v_div_scale_f64 v[11:12], vcc, s[0:1], v[11:12], s[0:1]
	v_mov_b32_e32 v23, 0xfca7ab0c
	v_mov_b32_e32 v24, 0x3e928af3
	v_rcp_f64_e32 v[17:18], v[15:16]
	v_fma_f64 v[19:20], -v[15:16], v[17:18], 1.0
	v_fma_f64 v[17:18], v[17:18], v[19:20], v[17:18]
	v_fma_f64 v[19:20], -v[15:16], v[17:18], 1.0
	v_fma_f64 v[17:18], v[17:18], v[19:20], v[17:18]
	v_mul_f64 v[19:20], v[11:12], v[17:18]
	v_fma_f64 v[11:12], -v[15:16], v[19:20], v[11:12]
	v_mov_b32_e32 v15, 0xea87b950
	v_mov_b32_e32 v16, 0x3c545b8a
	v_div_fmas_f64 v[11:12], v[11:12], v[17:18], v[19:20]
	v_cmp_ngt_f64_e32 vcc, 0, v[13:14]
	v_div_fixup_f64 v[11:12], v[11:12], |v[13:14]|, s[0:1]
	s_mov_b32 s1, 0x3c61556d
	s_mov_b32 s0, 0xb352e8e6
	v_add_f64 v[11:12], v[11:12], -2.0
	v_fma_f64 v[15:16], v[11:12], s[0:1], v[15:16]
	s_mov_b32 s1, 0xbc61556d
	v_fma_f64 v[17:18], v[11:12], v[15:16], s[0:1]
	s_mov_b32 s0, 0xb2532277
	s_mov_b32 s1, 0xbc8acea3
	v_add_f64 v[17:18], v[17:18], s[0:1]
	s_mov_b32 s0, 0x9c773320
	s_mov_b32 s1, 0xbc82806c
	v_fma_f64 v[15:16], v[11:12], v[17:18], -v[15:16]
	v_add_f64 v[15:16], v[15:16], s[0:1]
	s_mov_b32 s0, 0xfceb588a
	s_mov_b32 s1, 0x3cb55915
	v_fma_f64 v[17:18], v[11:12], v[15:16], -v[17:18]
	;; [unrolled: 4-line block ×14, first 2 shown]
	v_add_f64 v[17:18], v[17:18], s[0:1]
	s_mov_b32 s0, 0x652b82fe
	s_mov_b32 s1, 0x3ff71547
	v_mul_f64 v[19:20], |v[13:14]|, s[0:1]
	s_mov_b32 s0, 0x5423dd80
	s_mov_b32 s1, 0xbe0334ca
	v_fma_f64 v[15:16], v[11:12], v[17:18], -v[15:16]
	v_rndne_f64_e32 v[19:20], v[19:20]
	v_add_f64 v[15:16], v[15:16], s[0:1]
	s_mov_b32 s0, 0xfefa39ef
	s_mov_b32 s1, 0xbfe62e42
	v_fma_f64 v[21:22], v[19:20], s[0:1], |v[13:14]|
	s_mov_b32 s0, 0x9ad53528
	s_mov_b32 s1, 0xbe30790b
	v_cvt_i32_f64_e32 v4, v[19:20]
	v_fma_f64 v[17:18], v[11:12], v[15:16], -v[17:18]
	v_add_f64 v[17:18], v[17:18], s[0:1]
	s_mov_b32 s0, 0x3b39803f
	s_mov_b32 s1, 0xbc7abc9e
	v_fma_f64 v[21:22], v[19:20], s[0:1], v[21:22]
	s_mov_b32 s0, 0x6a5dcb37
	s_mov_b32 s1, 0x3e5ade15
	v_fma_f64 v[15:16], v[11:12], v[17:18], -v[15:16]
	v_fma_f64 v[23:24], v[21:22], s[0:1], v[23:24]
	s_mov_b32 s0, 0x94bb46c1
	s_mov_b32 s1, 0xbe5c4153
	v_add_f64 v[15:16], v[15:16], s[0:1]
	s_mov_b32 s0, 0x623fde64
	s_mov_b32 s1, 0x3ec71dee
	v_fma_f64 v[23:24], v[21:22], v[23:24], s[0:1]
	s_mov_b32 s0, 0x7c89e6b0
	s_mov_b32 s1, 0x3efa0199
	v_fma_f64 v[17:18], v[11:12], v[15:16], -v[17:18]
	v_fma_f64 v[23:24], v[21:22], v[23:24], s[0:1]
	s_mov_b32 s0, 0x2e9e5443
	s_mov_b32 s1, 0xbe90dbfd
	;; [unrolled: 10-line block ×5, first 2 shown]
	v_add_f64 v[15:16], v[15:16], s[0:1]
	s_mov_b32 s0, 0xb55b1514
	s_mov_b32 s1, 0x3fe8ea18
	v_fma_f64 v[23:24], v[21:22], v[23:24], 1.0
	v_fma_f64 v[11:12], v[11:12], v[15:16], -v[17:18]
	v_fma_f64 v[15:16], v[21:22], v[23:24], 1.0
	v_add_f64 v[11:12], v[11:12], s[0:1]
	s_mov_b32 s0, 0
	s_mov_b32 s1, 0x40900000
	v_ldexp_f64 v[15:16], v[15:16], v4
	v_cmp_ngt_f64_e64 s[0:1], |v[13:14]|, s[0:1]
	v_mov_b32_e32 v4, 0x7ff00000
	v_add_f64 v[17:18], v[11:12], -v[17:18]
                                        ; implicit-def: $vgpr11_vgpr12
	v_cndmask_b32_e64 v16, v4, v16, s[0:1]
	v_cndmask_b32_e64 v15, 0, v15, s[0:1]
	s_and_saveexec_b64 s[0:1], vcc
	s_xor_b64 s[0:1], exec, s[0:1]
	s_cbranch_execz .LBB7_105
; %bb.104:
	s_mov_b32 s8, 0
	s_brev_b32 s9, 8
	v_cmp_lt_f64_e64 vcc, |v[13:14]|, s[8:9]
	v_mov_b32_e32 v4, 0x100
	v_mul_f64 v[17:18], v[17:18], 0.5
	v_mov_b32_e32 v8, 0x260
	v_cndmask_b32_e32 v4, 0, v4, vcc
	v_ldexp_f64 v[11:12], |v[13:14]|, v4
	v_mov_b32_e32 v4, 0xffffff80
	v_cndmask_b32_e32 v4, 0, v4, vcc
	v_mul_f64 v[15:16], v[15:16], v[17:18]
	v_rsq_f64_e32 v[13:14], v[11:12]
	v_cmp_class_f64_e32 vcc, v[11:12], v8
	v_mul_f64 v[19:20], v[11:12], v[13:14]
	v_mul_f64 v[13:14], v[13:14], 0.5
	v_fma_f64 v[21:22], -v[13:14], v[19:20], 0.5
	v_fma_f64 v[19:20], v[19:20], v[21:22], v[19:20]
	v_fma_f64 v[13:14], v[13:14], v[21:22], v[13:14]
	v_fma_f64 v[21:22], -v[19:20], v[19:20], v[11:12]
	v_fma_f64 v[19:20], v[21:22], v[13:14], v[19:20]
	v_fma_f64 v[21:22], -v[19:20], v[19:20], v[11:12]
	v_fma_f64 v[13:14], v[21:22], v[13:14], v[19:20]
	v_ldexp_f64 v[13:14], v[13:14], v4
	v_cndmask_b32_e32 v12, v14, v12, vcc
	v_cndmask_b32_e32 v11, v13, v11, vcc
	v_div_scale_f64 v[13:14], s[8:9], v[11:12], v[11:12], v[15:16]
	v_div_scale_f64 v[21:22], vcc, v[15:16], v[11:12], v[15:16]
	v_rcp_f64_e32 v[17:18], v[13:14]
	v_fma_f64 v[19:20], -v[13:14], v[17:18], 1.0
	v_fma_f64 v[17:18], v[17:18], v[19:20], v[17:18]
	v_fma_f64 v[19:20], -v[13:14], v[17:18], 1.0
	v_fma_f64 v[17:18], v[17:18], v[19:20], v[17:18]
	v_mul_f64 v[19:20], v[21:22], v[17:18]
	v_fma_f64 v[13:14], -v[13:14], v[19:20], v[21:22]
	v_div_fmas_f64 v[13:14], v[13:14], v[17:18], v[19:20]
                                        ; implicit-def: $vgpr17_vgpr18
	v_div_fixup_f64 v[11:12], v[13:14], v[11:12], v[15:16]
                                        ; implicit-def: $vgpr13_vgpr14
                                        ; implicit-def: $vgpr15_vgpr16
.LBB7_105:
	s_andn2_saveexec_b64 s[0:1], s[0:1]
	s_cbranch_execz .LBB7_107
; %bb.106:
	s_mov_b32 s8, 0
	s_brev_b32 s9, 8
	v_cmp_lt_f64_e64 vcc, |v[13:14]|, s[8:9]
	v_mov_b32_e32 v4, 0x100
	v_mul_f64 v[17:18], v[17:18], -0.5
	v_mov_b32_e32 v8, 0x260
	v_cndmask_b32_e32 v4, 0, v4, vcc
	v_ldexp_f64 v[11:12], |v[13:14]|, v4
	v_mov_b32_e32 v4, 0xffffff80
	v_cndmask_b32_e32 v4, 0, v4, vcc
	v_mul_f64 v[15:16], v[15:16], v[17:18]
	v_rsq_f64_e32 v[13:14], v[11:12]
	v_cmp_class_f64_e32 vcc, v[11:12], v8
	v_mul_f64 v[19:20], v[11:12], v[13:14]
	v_mul_f64 v[13:14], v[13:14], 0.5
	v_fma_f64 v[21:22], -v[13:14], v[19:20], 0.5
	v_fma_f64 v[19:20], v[19:20], v[21:22], v[19:20]
	v_fma_f64 v[13:14], v[13:14], v[21:22], v[13:14]
	v_fma_f64 v[21:22], -v[19:20], v[19:20], v[11:12]
	v_fma_f64 v[19:20], v[21:22], v[13:14], v[19:20]
	v_fma_f64 v[21:22], -v[19:20], v[19:20], v[11:12]
	v_fma_f64 v[13:14], v[21:22], v[13:14], v[19:20]
	v_ldexp_f64 v[13:14], v[13:14], v4
	v_cndmask_b32_e32 v12, v14, v12, vcc
	v_cndmask_b32_e32 v11, v13, v11, vcc
	v_div_scale_f64 v[13:14], s[8:9], v[11:12], v[11:12], v[15:16]
	v_div_scale_f64 v[21:22], vcc, v[15:16], v[11:12], v[15:16]
	v_rcp_f64_e32 v[17:18], v[13:14]
	v_fma_f64 v[19:20], -v[13:14], v[17:18], 1.0
	v_fma_f64 v[17:18], v[17:18], v[19:20], v[17:18]
	v_fma_f64 v[19:20], -v[13:14], v[17:18], 1.0
	v_fma_f64 v[17:18], v[17:18], v[19:20], v[17:18]
	v_mul_f64 v[19:20], v[21:22], v[17:18]
	v_fma_f64 v[13:14], -v[13:14], v[19:20], v[21:22]
	v_div_fmas_f64 v[13:14], v[13:14], v[17:18], v[19:20]
	v_div_fixup_f64 v[11:12], v[13:14], v[11:12], v[15:16]
.LBB7_107:
	s_or_b64 exec, exec, s[0:1]
.LBB7_108:
	s_or_b64 exec, exec, s[2:3]
	global_load_dwordx2 v[4:5], v5, s[6:7]
	s_mov_b32 s0, 0
	s_mov_b32 s1, 0x40200000
                                        ; implicit-def: $vgpr13_vgpr14
	s_waitcnt vmcnt(0)
	v_cmp_le_f64_e64 s[0:1], |v[4:5]|, s[0:1]
	s_and_saveexec_b64 s[2:3], s[0:1]
	s_xor_b64 s[0:1], exec, s[2:3]
	s_cbranch_execz .LBB7_114
; %bb.109:
	v_fma_f64 v[13:14], |v[4:5]|, 0.5, -2.0
	v_mov_b32_e32 v15, 0xc38a0576
	v_mov_b32_e32 v16, 0xbc7857d0
	s_mov_b32 s3, 0x3c499f2a
	s_mov_b32 s2, 0xc3c4014
	s_mov_b32 s6, 0x3b39803f
	s_mov_b32 s7, 0xbc7abc9e
	v_mov_b32_e32 v23, 0xfca7ab0c
	v_fma_f64 v[15:16], v[13:14], s[2:3], v[15:16]
	s_mov_b32 s3, 0xbc499f2a
	v_mov_b32_e32 v24, 0x3e928af3
	v_cmp_ngt_f64_e32 vcc, 0, v[4:5]
	v_fma_f64 v[17:18], v[13:14], v[15:16], s[2:3]
	s_mov_b32 s2, 0xe593bfac
	s_mov_b32 s3, 0x3ca663e3
	v_add_f64 v[17:18], v[17:18], s[2:3]
	s_mov_b32 s2, 0x7e0d1573
	s_mov_b32 s3, 0xbcd3eaaa
	v_fma_f64 v[15:16], v[13:14], v[17:18], -v[15:16]
	v_add_f64 v[15:16], v[15:16], s[2:3]
	s_mov_b32 s2, 0x615290c
	s_mov_b32 s3, 0x3d011d7f
	v_fma_f64 v[17:18], v[13:14], v[15:16], -v[17:18]
	v_add_f64 v[17:18], v[17:18], s[2:3]
	s_mov_b32 s2, 0x1c8f0b3b
	s_mov_b32 s3, 0xbd2c628e
	v_fma_f64 v[15:16], v[13:14], v[17:18], -v[15:16]
	v_add_f64 v[15:16], v[15:16], s[2:3]
	s_mov_b32 s2, 0x4779d955
	s_mov_b32 s3, 0x3d56af78
	v_fma_f64 v[17:18], v[13:14], v[15:16], -v[17:18]
	v_add_f64 v[17:18], v[17:18], s[2:3]
	s_mov_b32 s2, 0x5fb70366
	s_mov_b32 s3, 0xbd817383
	v_fma_f64 v[15:16], v[13:14], v[17:18], -v[15:16]
	v_add_f64 v[15:16], v[15:16], s[2:3]
	s_mov_b32 s2, 0xb21d3154
	s_mov_b32 s3, 0x3da9cee2
	v_fma_f64 v[17:18], v[13:14], v[15:16], -v[17:18]
	v_add_f64 v[17:18], v[17:18], s[2:3]
	s_mov_b32 s2, 0x97eb07de
	s_mov_b32 s3, 0xbdd25103
	v_fma_f64 v[15:16], v[13:14], v[17:18], -v[15:16]
	v_add_f64 v[15:16], v[15:16], s[2:3]
	s_mov_b32 s2, 0xb43fdf6c
	s_mov_b32 s3, 0x3df8ea34
	v_fma_f64 v[17:18], v[13:14], v[15:16], -v[17:18]
	v_add_f64 v[17:18], v[17:18], s[2:3]
	s_mov_b32 s2, 0x28ea67e6
	s_mov_b32 s3, 0xbe20361b
	v_fma_f64 v[15:16], v[13:14], v[17:18], -v[15:16]
	v_add_f64 v[15:16], v[15:16], s[2:3]
	s_mov_b32 s2, 0x2395010
	s_mov_b32 s3, 0x3e44258e
	v_fma_f64 v[17:18], v[13:14], v[15:16], -v[17:18]
	v_add_f64 v[17:18], v[17:18], s[2:3]
	s_mov_b32 s2, 0x24b8c3e8
	s_mov_b32 s3, 0xbe67dd3e
	v_fma_f64 v[15:16], v[13:14], v[17:18], -v[15:16]
	v_add_f64 v[15:16], v[15:16], s[2:3]
	s_mov_b32 s2, 0xb347d108
	s_mov_b32 s3, 0x3e8ae344
	v_fma_f64 v[17:18], v[13:14], v[15:16], -v[17:18]
	v_add_f64 v[17:18], v[17:18], s[2:3]
	s_mov_b32 s2, 0x8363992a
	s_mov_b32 s3, 0xbeacc079
	v_fma_f64 v[15:16], v[13:14], v[17:18], -v[15:16]
	v_add_f64 v[15:16], v[15:16], s[2:3]
	s_mov_b32 s2, 0xd511afc5
	s_mov_b32 s3, 0x3ecd1c4e
	v_fma_f64 v[17:18], v[13:14], v[15:16], -v[17:18]
	v_add_f64 v[17:18], v[17:18], s[2:3]
	s_mov_b32 s2, 0xb8debbcf
	s_mov_b32 s3, 0xbeebd5f9
	v_fma_f64 v[15:16], v[13:14], v[17:18], -v[15:16]
	v_add_f64 v[15:16], v[15:16], s[2:3]
	s_mov_b32 s2, 0x42c70d0b
	s_mov_b32 s3, 0x3f0911b5
	v_fma_f64 v[17:18], v[13:14], v[15:16], -v[17:18]
	v_add_f64 v[17:18], v[17:18], s[2:3]
	s_mov_b32 s2, 0xd3d694fe
	s_mov_b32 s3, 0xbf2533ca
	v_fma_f64 v[15:16], v[13:14], v[17:18], -v[15:16]
	v_add_f64 v[15:16], v[15:16], s[2:3]
	s_mov_b32 s2, 0xb6c6df7d
	s_mov_b32 s3, 0x3f40c95d
	v_fma_f64 v[17:18], v[13:14], v[15:16], -v[17:18]
	v_add_f64 v[17:18], v[17:18], s[2:3]
	s_mov_b32 s2, 0xb3cd4a4
	s_mov_b32 s3, 0xbf58cc62
	v_fma_f64 v[15:16], v[13:14], v[17:18], -v[15:16]
	v_add_f64 v[15:16], v[15:16], s[2:3]
	s_mov_b32 s2, 0x49d3a1b4
	s_mov_b32 s3, 0x3f710653
	v_fma_f64 v[17:18], v[13:14], v[15:16], -v[17:18]
	v_add_f64 v[17:18], v[17:18], s[2:3]
	s_mov_b32 s2, 0x652b82fe
	s_mov_b32 s3, 0x3ff71547
	v_mul_f64 v[19:20], |v[4:5]|, s[2:3]
	s_mov_b32 s2, 0x7913a26a
	s_mov_b32 s3, 0xbf85a29f
	v_fma_f64 v[15:16], v[13:14], v[17:18], -v[15:16]
	v_rndne_f64_e32 v[19:20], v[19:20]
	v_add_f64 v[15:16], v[15:16], s[2:3]
	s_mov_b32 s2, 0xfefa39ef
	s_mov_b32 s3, 0xbfe62e42
	v_fma_f64 v[21:22], v[19:20], s[2:3], |v[4:5]|
	s_mov_b32 s2, 0xe7bb2349
	s_mov_b32 s3, 0x3f9951e3
	v_cvt_i32_f64_e32 v8, v[19:20]
	v_fma_f64 v[17:18], v[13:14], v[15:16], -v[17:18]
	v_fma_f64 v[21:22], v[19:20], s[6:7], v[21:22]
	s_mov_b32 s6, 0x623fde64
	s_mov_b32 s7, 0x3ec71dee
	v_add_f64 v[17:18], v[17:18], s[2:3]
	s_mov_b32 s2, 0x6a5dcb37
	s_mov_b32 s3, 0x3e5ade15
	v_fma_f64 v[23:24], v[21:22], s[2:3], v[23:24]
	s_mov_b32 s2, 0x537c9ebc
	s_mov_b32 s3, 0xbfab1bbc
	v_fma_f64 v[15:16], v[13:14], v[17:18], -v[15:16]
	v_fma_f64 v[23:24], v[21:22], v[23:24], s[6:7]
	s_mov_b32 s6, 0x14761f6e
	s_mov_b32 s7, 0x3f2a01a0
	v_add_f64 v[15:16], v[15:16], s[2:3]
	s_mov_b32 s2, 0x7c89e6b0
	s_mov_b32 s3, 0x3efa0199
	v_fma_f64 v[23:24], v[21:22], v[23:24], s[2:3]
	s_mov_b32 s2, 0xd536f53c
	s_mov_b32 s3, 0x3fba46da
	;; [unrolled: 10-line block ×3, first 2 shown]
	v_fma_f64 v[15:16], v[13:14], v[17:18], -v[15:16]
	v_fma_f64 v[23:24], v[21:22], v[23:24], s[6:7]
	s_mov_b32 s6, 0x55555511
	s_mov_b32 s7, 0x3fc55555
	v_add_f64 v[15:16], v[15:16], s[2:3]
	s_mov_b32 s2, 0x555502a1
	s_mov_b32 s3, 0x3fa55555
	v_fma_f64 v[13:14], v[13:14], v[15:16], -v[17:18]
	v_fma_f64 v[15:16], v[21:22], v[23:24], s[2:3]
	s_mov_b32 s2, 0x724a7ffa
	s_mov_b32 s3, 0x3fd02a63
	v_add_f64 v[13:14], v[13:14], s[2:3]
	v_fma_f64 v[15:16], v[21:22], v[15:16], s[6:7]
	s_mov_b32 s2, 11
	s_mov_b32 s3, 0x3fe00000
	v_add_f64 v[13:14], v[13:14], -v[17:18]
	v_fma_f64 v[15:16], v[21:22], v[15:16], s[2:3]
	v_mul_f64 v[13:14], v[13:14], 0.5
	v_fma_f64 v[17:18], v[21:22], v[15:16], 1.0
	v_mul_f64 v[15:16], |v[4:5]|, v[13:14]
	v_fma_f64 v[17:18], v[21:22], v[17:18], 1.0
                                        ; implicit-def: $vgpr13_vgpr14
	s_and_saveexec_b64 s[2:3], vcc
	s_xor_b64 s[2:3], exec, s[2:3]
	s_cbranch_execz .LBB7_111
; %bb.110:
	s_mov_b32 s6, 0
	s_mov_b32 s7, 0x40900000
	v_ldexp_f64 v[13:14], v[17:18], v8
	v_cmp_ngt_f64_e64 vcc, |v[4:5]|, s[6:7]
	v_mov_b32_e32 v8, 0x7ff00000
                                        ; implicit-def: $vgpr17_vgpr18
	v_cndmask_b32_e32 v5, v8, v14, vcc
	v_cndmask_b32_e32 v4, 0, v13, vcc
	v_mul_f64 v[13:14], v[4:5], v[15:16]
                                        ; implicit-def: $vgpr8
                                        ; implicit-def: $vgpr4_vgpr5
                                        ; implicit-def: $vgpr15_vgpr16
.LBB7_111:
	s_andn2_saveexec_b64 s[2:3], s[2:3]
	s_cbranch_execz .LBB7_113
; %bb.112:
	s_mov_b32 s6, 0
	s_mov_b32 s7, 0x40900000
	v_ldexp_f64 v[13:14], -v[17:18], v8
	v_cmp_ngt_f64_e64 vcc, |v[4:5]|, s[6:7]
	v_mov_b32_e32 v8, 0xfff00000
	v_cndmask_b32_e32 v5, v8, v14, vcc
	v_cndmask_b32_e32 v4, 0, v13, vcc
	v_mul_f64 v[13:14], v[4:5], v[15:16]
.LBB7_113:
	s_or_b64 exec, exec, s[2:3]
                                        ; implicit-def: $vgpr4_vgpr5
.LBB7_114:
	s_andn2_saveexec_b64 s[2:3], s[0:1]
	s_cbranch_execz .LBB7_120
; %bb.115:
	s_mov_b32 s0, 0
	v_and_b32_e32 v14, 0x7fffffff, v5
	v_mov_b32_e32 v13, v4
	s_mov_b32 s1, 0x40400000
	v_div_scale_f64 v[15:16], s[6:7], v[13:14], v[13:14], s[0:1]
	v_div_scale_f64 v[13:14], vcc, s[0:1], v[13:14], s[0:1]
	v_mov_b32_e32 v23, 0xfca7ab0c
	v_mov_b32_e32 v24, 0x3e928af3
	v_rcp_f64_e32 v[17:18], v[15:16]
	v_fma_f64 v[19:20], -v[15:16], v[17:18], 1.0
	v_fma_f64 v[17:18], v[17:18], v[19:20], v[17:18]
	v_fma_f64 v[19:20], -v[15:16], v[17:18], 1.0
	v_fma_f64 v[17:18], v[17:18], v[19:20], v[17:18]
	v_mul_f64 v[19:20], v[13:14], v[17:18]
	v_fma_f64 v[13:14], -v[15:16], v[19:20], v[13:14]
	v_mov_b32_e32 v15, 0xea87b950
	v_mov_b32_e32 v16, 0x3c545b8a
	v_div_fmas_f64 v[13:14], v[13:14], v[17:18], v[19:20]
	v_cmp_ngt_f64_e32 vcc, 0, v[4:5]
	v_div_fixup_f64 v[13:14], v[13:14], |v[4:5]|, s[0:1]
	s_mov_b32 s1, 0x3c61556d
	s_mov_b32 s0, 0xb352e8e6
	v_add_f64 v[13:14], v[13:14], -2.0
	v_fma_f64 v[15:16], v[13:14], s[0:1], v[15:16]
	s_mov_b32 s1, 0xbc61556d
	v_fma_f64 v[17:18], v[13:14], v[15:16], s[0:1]
	s_mov_b32 s0, 0xb2532277
	s_mov_b32 s1, 0xbc8acea3
	v_add_f64 v[17:18], v[17:18], s[0:1]
	s_mov_b32 s0, 0x9c773320
	s_mov_b32 s1, 0xbc82806c
	v_fma_f64 v[15:16], v[13:14], v[17:18], -v[15:16]
	v_add_f64 v[15:16], v[15:16], s[0:1]
	s_mov_b32 s0, 0xfceb588a
	s_mov_b32 s1, 0x3cb55915
	v_fma_f64 v[17:18], v[13:14], v[15:16], -v[17:18]
	;; [unrolled: 4-line block ×14, first 2 shown]
	v_add_f64 v[17:18], v[17:18], s[0:1]
	s_mov_b32 s0, 0x652b82fe
	s_mov_b32 s1, 0x3ff71547
	v_mul_f64 v[19:20], |v[4:5]|, s[0:1]
	s_mov_b32 s0, 0x5423dd80
	s_mov_b32 s1, 0xbe0334ca
	v_fma_f64 v[15:16], v[13:14], v[17:18], -v[15:16]
	v_rndne_f64_e32 v[19:20], v[19:20]
	v_add_f64 v[15:16], v[15:16], s[0:1]
	s_mov_b32 s0, 0xfefa39ef
	s_mov_b32 s1, 0xbfe62e42
	v_fma_f64 v[21:22], v[19:20], s[0:1], |v[4:5]|
	s_mov_b32 s0, 0x9ad53528
	s_mov_b32 s1, 0xbe30790b
	v_cvt_i32_f64_e32 v8, v[19:20]
	v_fma_f64 v[17:18], v[13:14], v[15:16], -v[17:18]
	v_add_f64 v[17:18], v[17:18], s[0:1]
	s_mov_b32 s0, 0x3b39803f
	s_mov_b32 s1, 0xbc7abc9e
	v_fma_f64 v[21:22], v[19:20], s[0:1], v[21:22]
	s_mov_b32 s0, 0x6a5dcb37
	s_mov_b32 s1, 0x3e5ade15
	v_fma_f64 v[15:16], v[13:14], v[17:18], -v[15:16]
	v_fma_f64 v[23:24], v[21:22], s[0:1], v[23:24]
	s_mov_b32 s0, 0x94bb46c1
	s_mov_b32 s1, 0xbe5c4153
	v_add_f64 v[15:16], v[15:16], s[0:1]
	s_mov_b32 s0, 0x623fde64
	s_mov_b32 s1, 0x3ec71dee
	v_fma_f64 v[23:24], v[21:22], v[23:24], s[0:1]
	s_mov_b32 s0, 0x7c89e6b0
	s_mov_b32 s1, 0x3efa0199
	v_fma_f64 v[17:18], v[13:14], v[15:16], -v[17:18]
	v_fma_f64 v[23:24], v[21:22], v[23:24], s[0:1]
	s_mov_b32 s0, 0x2e9e5443
	s_mov_b32 s1, 0xbe90dbfd
	;; [unrolled: 10-line block ×5, first 2 shown]
	v_add_f64 v[15:16], v[15:16], s[0:1]
	s_mov_b32 s0, 0xb55b1514
	s_mov_b32 s1, 0x3fe8ea18
	v_fma_f64 v[23:24], v[21:22], v[23:24], 1.0
	v_fma_f64 v[13:14], v[13:14], v[15:16], -v[17:18]
	v_fma_f64 v[15:16], v[21:22], v[23:24], 1.0
	v_add_f64 v[13:14], v[13:14], s[0:1]
	s_mov_b32 s0, 0
	s_mov_b32 s1, 0x40900000
	v_ldexp_f64 v[15:16], v[15:16], v8
	v_cmp_ngt_f64_e64 s[0:1], |v[4:5]|, s[0:1]
	v_mov_b32_e32 v8, 0x7ff00000
	v_add_f64 v[17:18], v[13:14], -v[17:18]
                                        ; implicit-def: $vgpr13_vgpr14
	v_cndmask_b32_e64 v16, v8, v16, s[0:1]
	v_cndmask_b32_e64 v15, 0, v15, s[0:1]
	s_and_saveexec_b64 s[0:1], vcc
	s_xor_b64 s[0:1], exec, s[0:1]
	s_cbranch_execz .LBB7_117
; %bb.116:
	s_mov_b32 s6, 0
	s_brev_b32 s7, 8
	v_cmp_lt_f64_e64 vcc, |v[4:5]|, s[6:7]
	v_mov_b32_e32 v8, 0x100
	v_mul_f64 v[17:18], v[17:18], 0.5
	v_cndmask_b32_e32 v8, 0, v8, vcc
	v_ldexp_f64 v[4:5], |v[4:5]|, v8
	v_mov_b32_e32 v8, 0xffffff80
	v_cndmask_b32_e32 v8, 0, v8, vcc
	v_mul_f64 v[15:16], v[15:16], v[17:18]
	v_rsq_f64_e32 v[13:14], v[4:5]
	v_mul_f64 v[19:20], v[4:5], v[13:14]
	v_mul_f64 v[13:14], v[13:14], 0.5
	v_fma_f64 v[21:22], -v[13:14], v[19:20], 0.5
	v_fma_f64 v[19:20], v[19:20], v[21:22], v[19:20]
	v_fma_f64 v[13:14], v[13:14], v[21:22], v[13:14]
	v_fma_f64 v[21:22], -v[19:20], v[19:20], v[4:5]
	v_fma_f64 v[19:20], v[21:22], v[13:14], v[19:20]
	v_fma_f64 v[21:22], -v[19:20], v[19:20], v[4:5]
	v_fma_f64 v[13:14], v[21:22], v[13:14], v[19:20]
	v_mov_b32_e32 v19, 0x260
	v_cmp_class_f64_e32 vcc, v[4:5], v19
	v_ldexp_f64 v[13:14], v[13:14], v8
	v_cndmask_b32_e32 v5, v14, v5, vcc
	v_cndmask_b32_e32 v4, v13, v4, vcc
	v_div_scale_f64 v[13:14], s[6:7], v[4:5], v[4:5], v[15:16]
	v_div_scale_f64 v[21:22], vcc, v[15:16], v[4:5], v[15:16]
	v_rcp_f64_e32 v[17:18], v[13:14]
	v_fma_f64 v[19:20], -v[13:14], v[17:18], 1.0
	v_fma_f64 v[17:18], v[17:18], v[19:20], v[17:18]
	v_fma_f64 v[19:20], -v[13:14], v[17:18], 1.0
	v_fma_f64 v[17:18], v[17:18], v[19:20], v[17:18]
	v_mul_f64 v[19:20], v[21:22], v[17:18]
	v_fma_f64 v[13:14], -v[13:14], v[19:20], v[21:22]
	v_div_fmas_f64 v[13:14], v[13:14], v[17:18], v[19:20]
                                        ; implicit-def: $vgpr17_vgpr18
	v_div_fixup_f64 v[13:14], v[13:14], v[4:5], v[15:16]
                                        ; implicit-def: $vgpr4_vgpr5
                                        ; implicit-def: $vgpr15_vgpr16
.LBB7_117:
	s_andn2_saveexec_b64 s[0:1], s[0:1]
	s_cbranch_execz .LBB7_119
; %bb.118:
	s_mov_b32 s6, 0
	s_brev_b32 s7, 8
	v_cmp_lt_f64_e64 vcc, |v[4:5]|, s[6:7]
	v_mov_b32_e32 v8, 0x100
	v_mul_f64 v[17:18], v[17:18], -0.5
	v_cndmask_b32_e32 v8, 0, v8, vcc
	v_ldexp_f64 v[4:5], |v[4:5]|, v8
	v_mov_b32_e32 v8, 0xffffff80
	v_cndmask_b32_e32 v8, 0, v8, vcc
	v_mul_f64 v[15:16], v[15:16], v[17:18]
	v_rsq_f64_e32 v[13:14], v[4:5]
	v_mul_f64 v[19:20], v[4:5], v[13:14]
	v_mul_f64 v[13:14], v[13:14], 0.5
	v_fma_f64 v[21:22], -v[13:14], v[19:20], 0.5
	v_fma_f64 v[19:20], v[19:20], v[21:22], v[19:20]
	v_fma_f64 v[13:14], v[13:14], v[21:22], v[13:14]
	v_fma_f64 v[21:22], -v[19:20], v[19:20], v[4:5]
	v_fma_f64 v[19:20], v[21:22], v[13:14], v[19:20]
	v_fma_f64 v[21:22], -v[19:20], v[19:20], v[4:5]
	v_fma_f64 v[13:14], v[21:22], v[13:14], v[19:20]
	v_mov_b32_e32 v19, 0x260
	v_cmp_class_f64_e32 vcc, v[4:5], v19
	v_ldexp_f64 v[13:14], v[13:14], v8
	v_cndmask_b32_e32 v5, v14, v5, vcc
	v_cndmask_b32_e32 v4, v13, v4, vcc
	v_div_scale_f64 v[13:14], s[6:7], v[4:5], v[4:5], v[15:16]
	v_div_scale_f64 v[21:22], vcc, v[15:16], v[4:5], v[15:16]
	v_rcp_f64_e32 v[17:18], v[13:14]
	v_fma_f64 v[19:20], -v[13:14], v[17:18], 1.0
	v_fma_f64 v[17:18], v[17:18], v[19:20], v[17:18]
	v_fma_f64 v[19:20], -v[13:14], v[17:18], 1.0
	v_fma_f64 v[17:18], v[17:18], v[19:20], v[17:18]
	v_mul_f64 v[19:20], v[21:22], v[17:18]
	v_fma_f64 v[13:14], -v[13:14], v[19:20], v[21:22]
	v_div_fmas_f64 v[13:14], v[13:14], v[17:18], v[19:20]
	v_div_fixup_f64 v[13:14], v[13:14], v[4:5], v[15:16]
.LBB7_119:
	s_or_b64 exec, exec, s[0:1]
.LBB7_120:
	s_or_b64 exec, exec, s[2:3]
	global_store_dwordx2 v0, v[6:7], s[4:5]
	global_store_dwordx2 v1, v[9:10], s[4:5]
	;; [unrolled: 1-line block ×4, first 2 shown]
	s_endpgm
.LBB7_121:
	v_mov_b32_e32 v0, 0
	v_mov_b32_e32 v2, 0
	s_branch .LBB7_127
.LBB7_122:
	v_mov_b32_e32 v0, 0
	v_mov_b32_e32 v2, 0
	s_branch .LBB7_155
.LBB7_123:
	s_mov_b32 s57, 0
	v_mov_b32_e32 v0, 0
	v_mov_b32_e32 v2, 0
	;; [unrolled: 1-line block ×3, first 2 shown]
.LBB7_124:
	s_and_b32 s4, s58, 3
	s_cmp_eq_u32 s4, 0
	s_cbranch_scc1 .LBB7_127
; %bb.125:
	s_lshl_b32 s0, s57, 3
	s_add_u32 s0, s34, s0
	s_addc_u32 s1, s35, 0
	s_add_u32 s0, s0, 0xc4
	s_addc_u32 s1, s1, 0
	s_mul_i32 s2, s57, 12
	s_add_u32 s2, s34, s2
	s_addc_u32 s3, s35, 0
.LBB7_126:                              ; =>This Inner Loop Header: Depth=1
	s_load_dwordx2 s[6:7], s[2:3], 0x4
	s_load_dword s5, s[2:3], 0xc
	s_load_dwordx2 s[8:9], s[0:1], 0x0
	s_add_u32 s2, s2, 12
	s_addc_u32 s3, s3, 0
	s_waitcnt lgkmcnt(0)
	v_mul_hi_u32 v3, s7, v1
	s_add_u32 s0, s0, 8
	s_addc_u32 s1, s1, 0
	s_add_i32 s4, s4, -1
	v_add_u32_e32 v3, v1, v3
	v_lshrrev_b32_e32 v4, s5, v3
	v_mul_lo_u32 v3, v4, s6
	s_cmp_lg_u32 s4, 0
	v_sub_u32_e32 v3, v1, v3
	v_mad_u64_u32 v[0:1], s[6:7], v3, s8, v[0:1]
	v_mad_u64_u32 v[2:3], s[6:7], v3, s9, v[2:3]
	v_mov_b32_e32 v1, v4
	s_cbranch_scc1 .LBB7_126
.LBB7_127:
	s_cbranch_execnz .LBB7_130
.LBB7_128:
	s_waitcnt lgkmcnt(0)
	v_mul_hi_u32 v0, s25, v9
	s_andn2_b64 vcc, exec, s[42:43]
	v_add_u32_e32 v0, v9, v0
	v_lshrrev_b32_e32 v1, s26, v0
	v_mul_lo_u32 v0, v1, s24
	v_sub_u32_e32 v2, v9, v0
	v_mul_lo_u32 v0, v2, s20
	v_mul_lo_u32 v2, v2, s21
	s_cbranch_vccnz .LBB7_130
; %bb.129:
	v_mul_hi_u32 v3, s40, v1
	v_add_u32_e32 v3, v1, v3
	v_lshrrev_b32_e32 v3, s41, v3
	v_mul_lo_u32 v3, v3, s27
	v_sub_u32_e32 v3, v1, v3
	v_mad_u64_u32 v[0:1], s[0:1], v3, s22, v[0:1]
	v_mad_u64_u32 v[2:3], s[0:1], v3, s23, v[2:3]
.LBB7_130:
	s_waitcnt lgkmcnt(0)
	global_load_dwordx2 v[1:2], v2, s[18:19]
	s_mov_b32 s0, 0
	s_mov_b32 s1, 0x40200000
                                        ; implicit-def: $vgpr3_vgpr4
	s_waitcnt vmcnt(0)
	v_cmp_le_f64_e64 s[0:1], |v[1:2]|, s[0:1]
	s_and_saveexec_b64 s[2:3], s[0:1]
	s_xor_b64 s[0:1], exec, s[2:3]
	s_cbranch_execz .LBB7_136
; %bb.131:
	v_fma_f64 v[3:4], |v[1:2]|, 0.5, -2.0
	v_mov_b32_e32 v5, 0xc38a0576
	v_mov_b32_e32 v6, 0xbc7857d0
	s_mov_b32 s3, 0x3c499f2a
	s_mov_b32 s2, 0xc3c4014
	;; [unrolled: 1-line block ×4, first 2 shown]
	v_mov_b32_e32 v14, 0xfca7ab0c
	v_fma_f64 v[5:6], v[3:4], s[2:3], v[5:6]
	s_mov_b32 s3, 0xbc499f2a
	v_mov_b32_e32 v15, 0x3e928af3
	v_cmp_ngt_f64_e32 vcc, 0, v[1:2]
	v_fma_f64 v[7:8], v[3:4], v[5:6], s[2:3]
	s_mov_b32 s2, 0xe593bfac
	s_mov_b32 s3, 0x3ca663e3
	v_add_f64 v[7:8], v[7:8], s[2:3]
	s_mov_b32 s2, 0x7e0d1573
	s_mov_b32 s3, 0xbcd3eaaa
	v_fma_f64 v[5:6], v[3:4], v[7:8], -v[5:6]
	v_add_f64 v[5:6], v[5:6], s[2:3]
	s_mov_b32 s2, 0x615290c
	s_mov_b32 s3, 0x3d011d7f
	v_fma_f64 v[7:8], v[3:4], v[5:6], -v[7:8]
	;; [unrolled: 4-line block ×20, first 2 shown]
	v_add_f64 v[7:8], v[7:8], s[2:3]
	s_mov_b32 s2, 0x652b82fe
	s_mov_b32 s3, 0x3ff71547
	v_mul_f64 v[10:11], |v[1:2]|, s[2:3]
	s_mov_b32 s2, 0x7913a26a
	s_mov_b32 s3, 0xbf85a29f
	v_fma_f64 v[5:6], v[3:4], v[7:8], -v[5:6]
	v_rndne_f64_e32 v[10:11], v[10:11]
	v_add_f64 v[5:6], v[5:6], s[2:3]
	s_mov_b32 s2, 0xfefa39ef
	s_mov_b32 s3, 0xbfe62e42
	v_fma_f64 v[12:13], v[10:11], s[2:3], |v[1:2]|
	s_mov_b32 s2, 0xe7bb2349
	s_mov_b32 s3, 0x3f9951e3
	v_fma_f64 v[7:8], v[3:4], v[5:6], -v[7:8]
	v_fma_f64 v[12:13], v[10:11], s[4:5], v[12:13]
	s_mov_b32 s4, 0x623fde64
	s_mov_b32 s5, 0x3ec71dee
	v_cvt_i32_f64_e32 v10, v[10:11]
	v_add_f64 v[7:8], v[7:8], s[2:3]
	s_mov_b32 s2, 0x6a5dcb37
	s_mov_b32 s3, 0x3e5ade15
	v_fma_f64 v[14:15], v[12:13], s[2:3], v[14:15]
	s_mov_b32 s2, 0x537c9ebc
	s_mov_b32 s3, 0xbfab1bbc
	v_fma_f64 v[5:6], v[3:4], v[7:8], -v[5:6]
	v_fma_f64 v[14:15], v[12:13], v[14:15], s[4:5]
	s_mov_b32 s4, 0x14761f6e
	s_mov_b32 s5, 0x3f2a01a0
	v_add_f64 v[5:6], v[5:6], s[2:3]
	s_mov_b32 s2, 0x7c89e6b0
	s_mov_b32 s3, 0x3efa0199
	v_fma_f64 v[14:15], v[12:13], v[14:15], s[2:3]
	s_mov_b32 s2, 0xd536f53c
	s_mov_b32 s3, 0x3fba46da
	v_fma_f64 v[7:8], v[3:4], v[5:6], -v[7:8]
	v_fma_f64 v[14:15], v[12:13], v[14:15], s[4:5]
	s_mov_b32 s4, 0x11122322
	s_mov_b32 s5, 0x3f811111
	;; [unrolled: 10-line block ×3, first 2 shown]
	v_add_f64 v[5:6], v[5:6], s[2:3]
	s_mov_b32 s2, 0x555502a1
	s_mov_b32 s3, 0x3fa55555
	v_fma_f64 v[3:4], v[3:4], v[5:6], -v[7:8]
	v_fma_f64 v[5:6], v[12:13], v[14:15], s[2:3]
	s_mov_b32 s2, 0x724a7ffa
	s_mov_b32 s3, 0x3fd02a63
	v_add_f64 v[3:4], v[3:4], s[2:3]
	v_fma_f64 v[5:6], v[12:13], v[5:6], s[4:5]
	s_mov_b32 s2, 11
	s_mov_b32 s3, 0x3fe00000
	v_add_f64 v[3:4], v[3:4], -v[7:8]
	v_fma_f64 v[5:6], v[12:13], v[5:6], s[2:3]
	v_mul_f64 v[3:4], v[3:4], 0.5
	v_fma_f64 v[7:8], v[12:13], v[5:6], 1.0
	v_mul_f64 v[5:6], |v[1:2]|, v[3:4]
	v_fma_f64 v[7:8], v[12:13], v[7:8], 1.0
                                        ; implicit-def: $vgpr3_vgpr4
	s_and_saveexec_b64 s[2:3], vcc
	s_xor_b64 s[2:3], exec, s[2:3]
	s_cbranch_execz .LBB7_133
; %bb.132:
	s_mov_b32 s4, 0
	s_mov_b32 s5, 0x40900000
	v_ldexp_f64 v[3:4], v[7:8], v10
	v_cmp_ngt_f64_e64 vcc, |v[1:2]|, s[4:5]
	v_mov_b32_e32 v7, 0x7ff00000
                                        ; implicit-def: $vgpr10
	v_cndmask_b32_e32 v2, v7, v4, vcc
	v_cndmask_b32_e32 v1, 0, v3, vcc
	v_mul_f64 v[3:4], v[1:2], v[5:6]
                                        ; implicit-def: $vgpr7_vgpr8
                                        ; implicit-def: $vgpr1_vgpr2
                                        ; implicit-def: $vgpr5_vgpr6
.LBB7_133:
	s_andn2_saveexec_b64 s[2:3], s[2:3]
	s_cbranch_execz .LBB7_135
; %bb.134:
	s_mov_b32 s4, 0
	s_mov_b32 s5, 0x40900000
	v_ldexp_f64 v[3:4], -v[7:8], v10
	v_cmp_ngt_f64_e64 vcc, |v[1:2]|, s[4:5]
	v_mov_b32_e32 v7, 0xfff00000
	v_cndmask_b32_e32 v2, v7, v4, vcc
	v_cndmask_b32_e32 v1, 0, v3, vcc
	v_mul_f64 v[3:4], v[1:2], v[5:6]
.LBB7_135:
	s_or_b64 exec, exec, s[2:3]
                                        ; implicit-def: $vgpr1_vgpr2
.LBB7_136:
	s_andn2_saveexec_b64 s[2:3], s[0:1]
	s_cbranch_execz .LBB7_142
; %bb.137:
	s_mov_b32 s0, 0
	v_and_b32_e32 v4, 0x7fffffff, v2
	v_mov_b32_e32 v3, v1
	s_mov_b32 s1, 0x40400000
	v_div_scale_f64 v[5:6], s[4:5], v[3:4], v[3:4], s[0:1]
	v_div_scale_f64 v[3:4], vcc, s[0:1], v[3:4], s[0:1]
	v_mov_b32_e32 v14, 0xfca7ab0c
	v_mov_b32_e32 v15, 0x3e928af3
	v_rcp_f64_e32 v[7:8], v[5:6]
	v_fma_f64 v[10:11], -v[5:6], v[7:8], 1.0
	v_fma_f64 v[7:8], v[7:8], v[10:11], v[7:8]
	v_fma_f64 v[10:11], -v[5:6], v[7:8], 1.0
	v_fma_f64 v[7:8], v[7:8], v[10:11], v[7:8]
	v_mul_f64 v[10:11], v[3:4], v[7:8]
	v_fma_f64 v[3:4], -v[5:6], v[10:11], v[3:4]
	v_mov_b32_e32 v5, 0xea87b950
	v_mov_b32_e32 v6, 0x3c545b8a
	v_div_fmas_f64 v[3:4], v[3:4], v[7:8], v[10:11]
	v_cmp_ngt_f64_e32 vcc, 0, v[1:2]
	v_div_fixup_f64 v[3:4], v[3:4], |v[1:2]|, s[0:1]
	s_mov_b32 s1, 0x3c61556d
	s_mov_b32 s0, 0xb352e8e6
	v_add_f64 v[3:4], v[3:4], -2.0
	v_fma_f64 v[5:6], v[3:4], s[0:1], v[5:6]
	s_mov_b32 s1, 0xbc61556d
	v_fma_f64 v[7:8], v[3:4], v[5:6], s[0:1]
	s_mov_b32 s0, 0xb2532277
	s_mov_b32 s1, 0xbc8acea3
	v_add_f64 v[7:8], v[7:8], s[0:1]
	s_mov_b32 s0, 0x9c773320
	s_mov_b32 s1, 0xbc82806c
	v_fma_f64 v[5:6], v[3:4], v[7:8], -v[5:6]
	v_add_f64 v[5:6], v[5:6], s[0:1]
	s_mov_b32 s0, 0xfceb588a
	s_mov_b32 s1, 0x3cb55915
	v_fma_f64 v[7:8], v[3:4], v[5:6], -v[7:8]
	;; [unrolled: 4-line block ×14, first 2 shown]
	v_add_f64 v[7:8], v[7:8], s[0:1]
	s_mov_b32 s0, 0x652b82fe
	s_mov_b32 s1, 0x3ff71547
	v_mul_f64 v[10:11], |v[1:2]|, s[0:1]
	s_mov_b32 s0, 0x5423dd80
	s_mov_b32 s1, 0xbe0334ca
	v_fma_f64 v[5:6], v[3:4], v[7:8], -v[5:6]
	v_rndne_f64_e32 v[10:11], v[10:11]
	v_add_f64 v[5:6], v[5:6], s[0:1]
	s_mov_b32 s0, 0xfefa39ef
	s_mov_b32 s1, 0xbfe62e42
	v_fma_f64 v[12:13], v[10:11], s[0:1], |v[1:2]|
	s_mov_b32 s0, 0x9ad53528
	s_mov_b32 s1, 0xbe30790b
	v_fma_f64 v[7:8], v[3:4], v[5:6], -v[7:8]
	v_add_f64 v[7:8], v[7:8], s[0:1]
	s_mov_b32 s0, 0x3b39803f
	s_mov_b32 s1, 0xbc7abc9e
	v_fma_f64 v[12:13], v[10:11], s[0:1], v[12:13]
	s_mov_b32 s0, 0x6a5dcb37
	s_mov_b32 s1, 0x3e5ade15
	v_cvt_i32_f64_e32 v10, v[10:11]
	v_fma_f64 v[5:6], v[3:4], v[7:8], -v[5:6]
	v_fma_f64 v[14:15], v[12:13], s[0:1], v[14:15]
	s_mov_b32 s0, 0x94bb46c1
	s_mov_b32 s1, 0xbe5c4153
	v_add_f64 v[5:6], v[5:6], s[0:1]
	s_mov_b32 s0, 0x623fde64
	s_mov_b32 s1, 0x3ec71dee
	v_fma_f64 v[14:15], v[12:13], v[14:15], s[0:1]
	s_mov_b32 s0, 0x7c89e6b0
	s_mov_b32 s1, 0x3efa0199
	v_fma_f64 v[7:8], v[3:4], v[5:6], -v[7:8]
	v_fma_f64 v[14:15], v[12:13], v[14:15], s[0:1]
	s_mov_b32 s0, 0x2e9e5443
	s_mov_b32 s1, 0xbe90dbfd
	v_add_f64 v[7:8], v[7:8], s[0:1]
	s_mov_b32 s0, 0x14761f6e
	s_mov_b32 s1, 0x3f2a01a0
	v_fma_f64 v[14:15], v[12:13], v[14:15], s[0:1]
	s_mov_b32 s0, 0x1852b7b0
	s_mov_b32 s1, 0x3f56c16c
	;; [unrolled: 10-line block ×4, first 2 shown]
	v_fma_f64 v[5:6], v[3:4], v[7:8], -v[5:6]
	v_fma_f64 v[14:15], v[12:13], v[14:15], s[0:1]
	s_mov_b32 s0, 0x53fcdb4c
	s_mov_b32 s1, 0xbf83fda0
	v_add_f64 v[5:6], v[5:6], s[0:1]
	s_mov_b32 s0, 0xb55b1514
	s_mov_b32 s1, 0x3fe8ea18
	v_fma_f64 v[14:15], v[12:13], v[14:15], 1.0
	v_fma_f64 v[3:4], v[3:4], v[5:6], -v[7:8]
	v_fma_f64 v[5:6], v[12:13], v[14:15], 1.0
	v_add_f64 v[3:4], v[3:4], s[0:1]
	s_mov_b32 s0, 0
	s_mov_b32 s1, 0x40900000
	v_ldexp_f64 v[5:6], v[5:6], v10
	v_cmp_ngt_f64_e64 s[0:1], |v[1:2]|, s[0:1]
	v_mov_b32_e32 v10, 0x7ff00000
	v_add_f64 v[7:8], v[3:4], -v[7:8]
                                        ; implicit-def: $vgpr3_vgpr4
	v_cndmask_b32_e64 v6, v10, v6, s[0:1]
	v_cndmask_b32_e64 v5, 0, v5, s[0:1]
	s_and_saveexec_b64 s[0:1], vcc
	s_xor_b64 s[0:1], exec, s[0:1]
	s_cbranch_execz .LBB7_139
; %bb.138:
	s_mov_b32 s4, 0
	s_brev_b32 s5, 8
	v_cmp_lt_f64_e64 vcc, |v[1:2]|, s[4:5]
	v_mov_b32_e32 v3, 0x100
	v_mul_f64 v[7:8], v[7:8], 0.5
	v_cndmask_b32_e32 v3, 0, v3, vcc
	v_ldexp_f64 v[1:2], |v[1:2]|, v3
	v_mul_f64 v[5:6], v[5:6], v[7:8]
	v_rsq_f64_e32 v[3:4], v[1:2]
	v_mul_f64 v[10:11], v[1:2], v[3:4]
	v_mul_f64 v[3:4], v[3:4], 0.5
	v_fma_f64 v[12:13], -v[3:4], v[10:11], 0.5
	v_fma_f64 v[10:11], v[10:11], v[12:13], v[10:11]
	v_fma_f64 v[3:4], v[3:4], v[12:13], v[3:4]
	v_fma_f64 v[12:13], -v[10:11], v[10:11], v[1:2]
	v_fma_f64 v[10:11], v[12:13], v[3:4], v[10:11]
	v_fma_f64 v[12:13], -v[10:11], v[10:11], v[1:2]
	v_fma_f64 v[3:4], v[12:13], v[3:4], v[10:11]
	v_mov_b32_e32 v10, 0xffffff80
	v_mov_b32_e32 v11, 0x260
	v_cndmask_b32_e32 v10, 0, v10, vcc
	v_cmp_class_f64_e32 vcc, v[1:2], v11
	v_ldexp_f64 v[3:4], v[3:4], v10
	v_cndmask_b32_e32 v2, v4, v2, vcc
	v_cndmask_b32_e32 v1, v3, v1, vcc
	v_div_scale_f64 v[3:4], s[4:5], v[1:2], v[1:2], v[5:6]
	v_div_scale_f64 v[12:13], vcc, v[5:6], v[1:2], v[5:6]
	v_rcp_f64_e32 v[7:8], v[3:4]
	v_fma_f64 v[10:11], -v[3:4], v[7:8], 1.0
	v_fma_f64 v[7:8], v[7:8], v[10:11], v[7:8]
	v_fma_f64 v[10:11], -v[3:4], v[7:8], 1.0
	v_fma_f64 v[7:8], v[7:8], v[10:11], v[7:8]
	v_mul_f64 v[10:11], v[12:13], v[7:8]
	v_fma_f64 v[3:4], -v[3:4], v[10:11], v[12:13]
	v_div_fmas_f64 v[3:4], v[3:4], v[7:8], v[10:11]
                                        ; implicit-def: $vgpr7_vgpr8
	v_div_fixup_f64 v[3:4], v[3:4], v[1:2], v[5:6]
                                        ; implicit-def: $vgpr1_vgpr2
                                        ; implicit-def: $vgpr5_vgpr6
.LBB7_139:
	s_andn2_saveexec_b64 s[0:1], s[0:1]
	s_cbranch_execz .LBB7_141
; %bb.140:
	s_mov_b32 s4, 0
	s_brev_b32 s5, 8
	v_cmp_lt_f64_e64 vcc, |v[1:2]|, s[4:5]
	v_mov_b32_e32 v3, 0x100
	v_mul_f64 v[7:8], v[7:8], -0.5
	v_cndmask_b32_e32 v3, 0, v3, vcc
	v_ldexp_f64 v[1:2], |v[1:2]|, v3
	v_mul_f64 v[5:6], v[5:6], v[7:8]
	v_rsq_f64_e32 v[3:4], v[1:2]
	v_mul_f64 v[10:11], v[1:2], v[3:4]
	v_mul_f64 v[3:4], v[3:4], 0.5
	v_fma_f64 v[12:13], -v[3:4], v[10:11], 0.5
	v_fma_f64 v[10:11], v[10:11], v[12:13], v[10:11]
	v_fma_f64 v[3:4], v[3:4], v[12:13], v[3:4]
	v_fma_f64 v[12:13], -v[10:11], v[10:11], v[1:2]
	v_fma_f64 v[10:11], v[12:13], v[3:4], v[10:11]
	v_fma_f64 v[12:13], -v[10:11], v[10:11], v[1:2]
	v_fma_f64 v[3:4], v[12:13], v[3:4], v[10:11]
	v_mov_b32_e32 v10, 0xffffff80
	v_mov_b32_e32 v11, 0x260
	v_cndmask_b32_e32 v10, 0, v10, vcc
	v_cmp_class_f64_e32 vcc, v[1:2], v11
	v_ldexp_f64 v[3:4], v[3:4], v10
	v_cndmask_b32_e32 v2, v4, v2, vcc
	v_cndmask_b32_e32 v1, v3, v1, vcc
	v_div_scale_f64 v[3:4], s[4:5], v[1:2], v[1:2], v[5:6]
	v_div_scale_f64 v[12:13], vcc, v[5:6], v[1:2], v[5:6]
	v_rcp_f64_e32 v[7:8], v[3:4]
	v_fma_f64 v[10:11], -v[3:4], v[7:8], 1.0
	v_fma_f64 v[7:8], v[7:8], v[10:11], v[7:8]
	v_fma_f64 v[10:11], -v[3:4], v[7:8], 1.0
	v_fma_f64 v[7:8], v[7:8], v[10:11], v[7:8]
	v_mul_f64 v[10:11], v[12:13], v[7:8]
	v_fma_f64 v[3:4], -v[3:4], v[10:11], v[12:13]
	v_div_fmas_f64 v[3:4], v[3:4], v[7:8], v[10:11]
	v_div_fixup_f64 v[3:4], v[3:4], v[1:2], v[5:6]
.LBB7_141:
	s_or_b64 exec, exec, s[0:1]
.LBB7_142:
	s_or_b64 exec, exec, s[2:3]
	v_add_u32_e32 v9, 0x80, v9
	global_store_dwordx2 v0, v[3:4], s[16:17]
	s_or_b64 exec, exec, s[48:49]
	v_cmp_gt_i32_e32 vcc, s55, v9
	s_and_saveexec_b64 s[48:49], vcc
	s_cbranch_execnz .LBB7_15
.LBB7_143:
	s_or_b64 exec, exec, s[48:49]
	v_cmp_gt_i32_e32 vcc, s55, v9
	s_and_saveexec_b64 s[48:49], vcc
	s_cbranch_execz .LBB7_171
.LBB7_144:
	s_andn2_b64 vcc, exec, s[36:37]
	s_cbranch_vccnz .LBB7_149
; %bb.145:
	s_andn2_b64 vcc, exec, s[46:47]
	s_cbranch_vccnz .LBB7_150
; %bb.146:
	s_add_i32 s58, s56, 1
	s_cmp_eq_u32 s54, 2
	s_cbranch_scc1 .LBB7_174
; %bb.147:
	s_and_b32 s57, s58, 28
	v_mov_b32_e32 v2, 0
	s_mov_b32 s59, 0
	s_mov_b64 s[50:51], s[34:35]
	s_mov_b64 s[52:53], s[44:45]
	v_mov_b32_e32 v0, 0
	v_mov_b32_e32 v1, v9
.LBB7_148:                              ; =>This Inner Loop Header: Depth=1
	s_load_dwordx8 s[8:15], s[50:51], 0x4
	s_load_dwordx4 s[28:31], s[50:51], 0x24
	s_load_dwordx8 s[0:7], s[52:53], 0x0
	s_add_u32 s50, s50, 48
	s_addc_u32 s51, s51, 0
	s_waitcnt lgkmcnt(0)
	v_mul_hi_u32 v3, s9, v1
	s_add_i32 s59, s59, 4
	s_add_u32 s52, s52, 32
	s_addc_u32 s53, s53, 0
	v_add_u32_e32 v3, v1, v3
	v_lshrrev_b32_e32 v3, s10, v3
	v_mul_lo_u32 v4, v3, s8
	v_mul_hi_u32 v5, s12, v3
	s_cmp_eq_u32 s57, s59
	v_sub_u32_e32 v1, v1, v4
	v_add_u32_e32 v4, v3, v5
	v_mul_lo_u32 v5, v1, s0
	v_mul_lo_u32 v6, v1, s1
	v_lshrrev_b32_e32 v1, s13, v4
	v_mul_lo_u32 v4, v1, s11
	v_mul_hi_u32 v7, s15, v1
	v_sub_u32_e32 v3, v3, v4
	v_add_u32_e32 v4, v1, v7
	v_lshrrev_b32_e32 v4, s28, v4
	v_mul_hi_u32 v8, s30, v4
	v_mul_lo_u32 v10, v4, s14
	v_mul_lo_u32 v7, v3, s2
	;; [unrolled: 1-line block ×3, first 2 shown]
	v_sub_u32_e32 v10, v1, v10
	v_add_u32_e32 v1, v4, v8
	v_lshrrev_b32_e32 v1, s31, v1
	v_mul_lo_u32 v8, v1, s29
	v_mul_lo_u32 v11, v10, s4
	;; [unrolled: 1-line block ×3, first 2 shown]
	v_add3_u32 v0, v5, v0, v7
	v_sub_u32_e32 v4, v4, v8
	v_mul_lo_u32 v8, v4, s6
	v_mul_lo_u32 v4, v4, s7
	v_add3_u32 v2, v6, v2, v3
	v_add3_u32 v0, v11, v0, v8
	;; [unrolled: 1-line block ×3, first 2 shown]
	s_cbranch_scc0 .LBB7_148
	s_branch .LBB7_175
.LBB7_149:
                                        ; implicit-def: $vgpr0
                                        ; implicit-def: $vgpr2
	s_branch .LBB7_179
.LBB7_150:
	v_mov_b32_e32 v0, 0
	v_mov_b32_e32 v2, 0
	s_branch .LBB7_178
.LBB7_151:
	s_mov_b32 s57, 0
	v_mov_b32_e32 v0, 0
	v_mov_b32_e32 v2, 0
	;; [unrolled: 1-line block ×3, first 2 shown]
.LBB7_152:
	s_and_b32 s4, s58, 3
	s_cmp_eq_u32 s4, 0
	s_cbranch_scc1 .LBB7_155
; %bb.153:
	s_lshl_b32 s0, s57, 3
	s_add_u32 s0, s34, s0
	s_addc_u32 s1, s35, 0
	s_add_u32 s0, s0, 0xc4
	s_addc_u32 s1, s1, 0
	s_mul_i32 s2, s57, 12
	s_add_u32 s2, s34, s2
	s_addc_u32 s3, s35, 0
.LBB7_154:                              ; =>This Inner Loop Header: Depth=1
	s_load_dwordx2 s[6:7], s[2:3], 0x4
	s_load_dword s5, s[2:3], 0xc
	s_load_dwordx2 s[8:9], s[0:1], 0x0
	s_add_u32 s2, s2, 12
	s_addc_u32 s3, s3, 0
	s_waitcnt lgkmcnt(0)
	v_mul_hi_u32 v3, s7, v1
	s_add_u32 s0, s0, 8
	s_addc_u32 s1, s1, 0
	s_add_i32 s4, s4, -1
	v_add_u32_e32 v3, v1, v3
	v_lshrrev_b32_e32 v4, s5, v3
	v_mul_lo_u32 v3, v4, s6
	s_cmp_lg_u32 s4, 0
	v_sub_u32_e32 v3, v1, v3
	v_mad_u64_u32 v[0:1], s[6:7], v3, s8, v[0:1]
	v_mad_u64_u32 v[2:3], s[6:7], v3, s9, v[2:3]
	v_mov_b32_e32 v1, v4
	s_cbranch_scc1 .LBB7_154
.LBB7_155:
	s_cbranch_execnz .LBB7_158
.LBB7_156:
	s_waitcnt lgkmcnt(0)
	v_mul_hi_u32 v0, s25, v9
	s_andn2_b64 vcc, exec, s[42:43]
	v_add_u32_e32 v0, v9, v0
	v_lshrrev_b32_e32 v1, s26, v0
	v_mul_lo_u32 v0, v1, s24
	v_sub_u32_e32 v2, v9, v0
	v_mul_lo_u32 v0, v2, s20
	v_mul_lo_u32 v2, v2, s21
	s_cbranch_vccnz .LBB7_158
; %bb.157:
	v_mul_hi_u32 v3, s40, v1
	v_add_u32_e32 v3, v1, v3
	v_lshrrev_b32_e32 v3, s41, v3
	v_mul_lo_u32 v3, v3, s27
	v_sub_u32_e32 v3, v1, v3
	v_mad_u64_u32 v[0:1], s[0:1], v3, s22, v[0:1]
	v_mad_u64_u32 v[2:3], s[0:1], v3, s23, v[2:3]
.LBB7_158:
	s_waitcnt lgkmcnt(0)
	global_load_dwordx2 v[1:2], v2, s[18:19]
	s_mov_b32 s0, 0
	s_mov_b32 s1, 0x40200000
                                        ; implicit-def: $vgpr3_vgpr4
	s_waitcnt vmcnt(0)
	v_cmp_le_f64_e64 s[0:1], |v[1:2]|, s[0:1]
	s_and_saveexec_b64 s[2:3], s[0:1]
	s_xor_b64 s[0:1], exec, s[2:3]
	s_cbranch_execz .LBB7_164
; %bb.159:
	v_fma_f64 v[3:4], |v[1:2]|, 0.5, -2.0
	v_mov_b32_e32 v5, 0xc38a0576
	v_mov_b32_e32 v6, 0xbc7857d0
	s_mov_b32 s3, 0x3c499f2a
	s_mov_b32 s2, 0xc3c4014
	;; [unrolled: 1-line block ×4, first 2 shown]
	v_mov_b32_e32 v14, 0xfca7ab0c
	v_fma_f64 v[5:6], v[3:4], s[2:3], v[5:6]
	s_mov_b32 s3, 0xbc499f2a
	v_mov_b32_e32 v15, 0x3e928af3
	v_cmp_ngt_f64_e32 vcc, 0, v[1:2]
	v_fma_f64 v[7:8], v[3:4], v[5:6], s[2:3]
	s_mov_b32 s2, 0xe593bfac
	s_mov_b32 s3, 0x3ca663e3
	v_add_f64 v[7:8], v[7:8], s[2:3]
	s_mov_b32 s2, 0x7e0d1573
	s_mov_b32 s3, 0xbcd3eaaa
	v_fma_f64 v[5:6], v[3:4], v[7:8], -v[5:6]
	v_add_f64 v[5:6], v[5:6], s[2:3]
	s_mov_b32 s2, 0x615290c
	s_mov_b32 s3, 0x3d011d7f
	v_fma_f64 v[7:8], v[3:4], v[5:6], -v[7:8]
	;; [unrolled: 4-line block ×20, first 2 shown]
	v_add_f64 v[7:8], v[7:8], s[2:3]
	s_mov_b32 s2, 0x652b82fe
	s_mov_b32 s3, 0x3ff71547
	v_mul_f64 v[10:11], |v[1:2]|, s[2:3]
	s_mov_b32 s2, 0x7913a26a
	s_mov_b32 s3, 0xbf85a29f
	v_fma_f64 v[5:6], v[3:4], v[7:8], -v[5:6]
	v_rndne_f64_e32 v[10:11], v[10:11]
	v_add_f64 v[5:6], v[5:6], s[2:3]
	s_mov_b32 s2, 0xfefa39ef
	s_mov_b32 s3, 0xbfe62e42
	v_fma_f64 v[12:13], v[10:11], s[2:3], |v[1:2]|
	s_mov_b32 s2, 0xe7bb2349
	s_mov_b32 s3, 0x3f9951e3
	v_fma_f64 v[7:8], v[3:4], v[5:6], -v[7:8]
	v_fma_f64 v[12:13], v[10:11], s[4:5], v[12:13]
	s_mov_b32 s4, 0x623fde64
	s_mov_b32 s5, 0x3ec71dee
	v_cvt_i32_f64_e32 v10, v[10:11]
	v_add_f64 v[7:8], v[7:8], s[2:3]
	s_mov_b32 s2, 0x6a5dcb37
	s_mov_b32 s3, 0x3e5ade15
	v_fma_f64 v[14:15], v[12:13], s[2:3], v[14:15]
	s_mov_b32 s2, 0x537c9ebc
	s_mov_b32 s3, 0xbfab1bbc
	v_fma_f64 v[5:6], v[3:4], v[7:8], -v[5:6]
	v_fma_f64 v[14:15], v[12:13], v[14:15], s[4:5]
	s_mov_b32 s4, 0x14761f6e
	s_mov_b32 s5, 0x3f2a01a0
	v_add_f64 v[5:6], v[5:6], s[2:3]
	s_mov_b32 s2, 0x7c89e6b0
	s_mov_b32 s3, 0x3efa0199
	v_fma_f64 v[14:15], v[12:13], v[14:15], s[2:3]
	s_mov_b32 s2, 0xd536f53c
	s_mov_b32 s3, 0x3fba46da
	v_fma_f64 v[7:8], v[3:4], v[5:6], -v[7:8]
	v_fma_f64 v[14:15], v[12:13], v[14:15], s[4:5]
	s_mov_b32 s4, 0x11122322
	s_mov_b32 s5, 0x3f811111
	;; [unrolled: 10-line block ×3, first 2 shown]
	v_add_f64 v[5:6], v[5:6], s[2:3]
	s_mov_b32 s2, 0x555502a1
	s_mov_b32 s3, 0x3fa55555
	v_fma_f64 v[3:4], v[3:4], v[5:6], -v[7:8]
	v_fma_f64 v[5:6], v[12:13], v[14:15], s[2:3]
	s_mov_b32 s2, 0x724a7ffa
	s_mov_b32 s3, 0x3fd02a63
	v_add_f64 v[3:4], v[3:4], s[2:3]
	v_fma_f64 v[5:6], v[12:13], v[5:6], s[4:5]
	s_mov_b32 s2, 11
	s_mov_b32 s3, 0x3fe00000
	v_add_f64 v[3:4], v[3:4], -v[7:8]
	v_fma_f64 v[5:6], v[12:13], v[5:6], s[2:3]
	v_mul_f64 v[3:4], v[3:4], 0.5
	v_fma_f64 v[7:8], v[12:13], v[5:6], 1.0
	v_mul_f64 v[5:6], |v[1:2]|, v[3:4]
	v_fma_f64 v[7:8], v[12:13], v[7:8], 1.0
                                        ; implicit-def: $vgpr3_vgpr4
	s_and_saveexec_b64 s[2:3], vcc
	s_xor_b64 s[2:3], exec, s[2:3]
	s_cbranch_execz .LBB7_161
; %bb.160:
	s_mov_b32 s4, 0
	s_mov_b32 s5, 0x40900000
	v_ldexp_f64 v[3:4], v[7:8], v10
	v_cmp_ngt_f64_e64 vcc, |v[1:2]|, s[4:5]
	v_mov_b32_e32 v7, 0x7ff00000
                                        ; implicit-def: $vgpr10
	v_cndmask_b32_e32 v2, v7, v4, vcc
	v_cndmask_b32_e32 v1, 0, v3, vcc
	v_mul_f64 v[3:4], v[1:2], v[5:6]
                                        ; implicit-def: $vgpr7_vgpr8
                                        ; implicit-def: $vgpr1_vgpr2
                                        ; implicit-def: $vgpr5_vgpr6
.LBB7_161:
	s_andn2_saveexec_b64 s[2:3], s[2:3]
	s_cbranch_execz .LBB7_163
; %bb.162:
	s_mov_b32 s4, 0
	s_mov_b32 s5, 0x40900000
	v_ldexp_f64 v[3:4], -v[7:8], v10
	v_cmp_ngt_f64_e64 vcc, |v[1:2]|, s[4:5]
	v_mov_b32_e32 v7, 0xfff00000
	v_cndmask_b32_e32 v2, v7, v4, vcc
	v_cndmask_b32_e32 v1, 0, v3, vcc
	v_mul_f64 v[3:4], v[1:2], v[5:6]
.LBB7_163:
	s_or_b64 exec, exec, s[2:3]
                                        ; implicit-def: $vgpr1_vgpr2
.LBB7_164:
	s_andn2_saveexec_b64 s[2:3], s[0:1]
	s_cbranch_execz .LBB7_170
; %bb.165:
	s_mov_b32 s0, 0
	v_and_b32_e32 v4, 0x7fffffff, v2
	v_mov_b32_e32 v3, v1
	s_mov_b32 s1, 0x40400000
	v_div_scale_f64 v[5:6], s[4:5], v[3:4], v[3:4], s[0:1]
	v_div_scale_f64 v[3:4], vcc, s[0:1], v[3:4], s[0:1]
	v_mov_b32_e32 v14, 0xfca7ab0c
	v_mov_b32_e32 v15, 0x3e928af3
	v_rcp_f64_e32 v[7:8], v[5:6]
	v_fma_f64 v[10:11], -v[5:6], v[7:8], 1.0
	v_fma_f64 v[7:8], v[7:8], v[10:11], v[7:8]
	v_fma_f64 v[10:11], -v[5:6], v[7:8], 1.0
	v_fma_f64 v[7:8], v[7:8], v[10:11], v[7:8]
	v_mul_f64 v[10:11], v[3:4], v[7:8]
	v_fma_f64 v[3:4], -v[5:6], v[10:11], v[3:4]
	v_mov_b32_e32 v5, 0xea87b950
	v_mov_b32_e32 v6, 0x3c545b8a
	v_div_fmas_f64 v[3:4], v[3:4], v[7:8], v[10:11]
	v_cmp_ngt_f64_e32 vcc, 0, v[1:2]
	v_div_fixup_f64 v[3:4], v[3:4], |v[1:2]|, s[0:1]
	s_mov_b32 s1, 0x3c61556d
	s_mov_b32 s0, 0xb352e8e6
	v_add_f64 v[3:4], v[3:4], -2.0
	v_fma_f64 v[5:6], v[3:4], s[0:1], v[5:6]
	s_mov_b32 s1, 0xbc61556d
	v_fma_f64 v[7:8], v[3:4], v[5:6], s[0:1]
	s_mov_b32 s0, 0xb2532277
	s_mov_b32 s1, 0xbc8acea3
	v_add_f64 v[7:8], v[7:8], s[0:1]
	s_mov_b32 s0, 0x9c773320
	s_mov_b32 s1, 0xbc82806c
	v_fma_f64 v[5:6], v[3:4], v[7:8], -v[5:6]
	v_add_f64 v[5:6], v[5:6], s[0:1]
	s_mov_b32 s0, 0xfceb588a
	s_mov_b32 s1, 0x3cb55915
	v_fma_f64 v[7:8], v[3:4], v[5:6], -v[7:8]
	;; [unrolled: 4-line block ×14, first 2 shown]
	v_add_f64 v[7:8], v[7:8], s[0:1]
	s_mov_b32 s0, 0x652b82fe
	s_mov_b32 s1, 0x3ff71547
	v_mul_f64 v[10:11], |v[1:2]|, s[0:1]
	s_mov_b32 s0, 0x5423dd80
	s_mov_b32 s1, 0xbe0334ca
	v_fma_f64 v[5:6], v[3:4], v[7:8], -v[5:6]
	v_rndne_f64_e32 v[10:11], v[10:11]
	v_add_f64 v[5:6], v[5:6], s[0:1]
	s_mov_b32 s0, 0xfefa39ef
	s_mov_b32 s1, 0xbfe62e42
	v_fma_f64 v[12:13], v[10:11], s[0:1], |v[1:2]|
	s_mov_b32 s0, 0x9ad53528
	s_mov_b32 s1, 0xbe30790b
	v_fma_f64 v[7:8], v[3:4], v[5:6], -v[7:8]
	v_add_f64 v[7:8], v[7:8], s[0:1]
	s_mov_b32 s0, 0x3b39803f
	s_mov_b32 s1, 0xbc7abc9e
	v_fma_f64 v[12:13], v[10:11], s[0:1], v[12:13]
	s_mov_b32 s0, 0x6a5dcb37
	s_mov_b32 s1, 0x3e5ade15
	v_cvt_i32_f64_e32 v10, v[10:11]
	v_fma_f64 v[5:6], v[3:4], v[7:8], -v[5:6]
	v_fma_f64 v[14:15], v[12:13], s[0:1], v[14:15]
	s_mov_b32 s0, 0x94bb46c1
	s_mov_b32 s1, 0xbe5c4153
	v_add_f64 v[5:6], v[5:6], s[0:1]
	s_mov_b32 s0, 0x623fde64
	s_mov_b32 s1, 0x3ec71dee
	v_fma_f64 v[14:15], v[12:13], v[14:15], s[0:1]
	s_mov_b32 s0, 0x7c89e6b0
	s_mov_b32 s1, 0x3efa0199
	v_fma_f64 v[7:8], v[3:4], v[5:6], -v[7:8]
	v_fma_f64 v[14:15], v[12:13], v[14:15], s[0:1]
	s_mov_b32 s0, 0x2e9e5443
	s_mov_b32 s1, 0xbe90dbfd
	v_add_f64 v[7:8], v[7:8], s[0:1]
	s_mov_b32 s0, 0x14761f6e
	s_mov_b32 s1, 0x3f2a01a0
	v_fma_f64 v[14:15], v[12:13], v[14:15], s[0:1]
	s_mov_b32 s0, 0x1852b7b0
	s_mov_b32 s1, 0x3f56c16c
	;; [unrolled: 10-line block ×4, first 2 shown]
	v_fma_f64 v[5:6], v[3:4], v[7:8], -v[5:6]
	v_fma_f64 v[14:15], v[12:13], v[14:15], s[0:1]
	s_mov_b32 s0, 0x53fcdb4c
	s_mov_b32 s1, 0xbf83fda0
	v_add_f64 v[5:6], v[5:6], s[0:1]
	s_mov_b32 s0, 0xb55b1514
	s_mov_b32 s1, 0x3fe8ea18
	v_fma_f64 v[14:15], v[12:13], v[14:15], 1.0
	v_fma_f64 v[3:4], v[3:4], v[5:6], -v[7:8]
	v_fma_f64 v[5:6], v[12:13], v[14:15], 1.0
	v_add_f64 v[3:4], v[3:4], s[0:1]
	s_mov_b32 s0, 0
	s_mov_b32 s1, 0x40900000
	v_ldexp_f64 v[5:6], v[5:6], v10
	v_cmp_ngt_f64_e64 s[0:1], |v[1:2]|, s[0:1]
	v_mov_b32_e32 v10, 0x7ff00000
	v_add_f64 v[7:8], v[3:4], -v[7:8]
                                        ; implicit-def: $vgpr3_vgpr4
	v_cndmask_b32_e64 v6, v10, v6, s[0:1]
	v_cndmask_b32_e64 v5, 0, v5, s[0:1]
	s_and_saveexec_b64 s[0:1], vcc
	s_xor_b64 s[0:1], exec, s[0:1]
	s_cbranch_execz .LBB7_167
; %bb.166:
	s_mov_b32 s4, 0
	s_brev_b32 s5, 8
	v_cmp_lt_f64_e64 vcc, |v[1:2]|, s[4:5]
	v_mov_b32_e32 v3, 0x100
	v_mul_f64 v[7:8], v[7:8], 0.5
	v_cndmask_b32_e32 v3, 0, v3, vcc
	v_ldexp_f64 v[1:2], |v[1:2]|, v3
	v_mul_f64 v[5:6], v[5:6], v[7:8]
	v_rsq_f64_e32 v[3:4], v[1:2]
	v_mul_f64 v[10:11], v[1:2], v[3:4]
	v_mul_f64 v[3:4], v[3:4], 0.5
	v_fma_f64 v[12:13], -v[3:4], v[10:11], 0.5
	v_fma_f64 v[10:11], v[10:11], v[12:13], v[10:11]
	v_fma_f64 v[3:4], v[3:4], v[12:13], v[3:4]
	v_fma_f64 v[12:13], -v[10:11], v[10:11], v[1:2]
	v_fma_f64 v[10:11], v[12:13], v[3:4], v[10:11]
	v_fma_f64 v[12:13], -v[10:11], v[10:11], v[1:2]
	v_fma_f64 v[3:4], v[12:13], v[3:4], v[10:11]
	v_mov_b32_e32 v10, 0xffffff80
	v_mov_b32_e32 v11, 0x260
	v_cndmask_b32_e32 v10, 0, v10, vcc
	v_cmp_class_f64_e32 vcc, v[1:2], v11
	v_ldexp_f64 v[3:4], v[3:4], v10
	v_cndmask_b32_e32 v2, v4, v2, vcc
	v_cndmask_b32_e32 v1, v3, v1, vcc
	v_div_scale_f64 v[3:4], s[4:5], v[1:2], v[1:2], v[5:6]
	v_div_scale_f64 v[12:13], vcc, v[5:6], v[1:2], v[5:6]
	v_rcp_f64_e32 v[7:8], v[3:4]
	v_fma_f64 v[10:11], -v[3:4], v[7:8], 1.0
	v_fma_f64 v[7:8], v[7:8], v[10:11], v[7:8]
	v_fma_f64 v[10:11], -v[3:4], v[7:8], 1.0
	v_fma_f64 v[7:8], v[7:8], v[10:11], v[7:8]
	v_mul_f64 v[10:11], v[12:13], v[7:8]
	v_fma_f64 v[3:4], -v[3:4], v[10:11], v[12:13]
	v_div_fmas_f64 v[3:4], v[3:4], v[7:8], v[10:11]
                                        ; implicit-def: $vgpr7_vgpr8
	v_div_fixup_f64 v[3:4], v[3:4], v[1:2], v[5:6]
                                        ; implicit-def: $vgpr1_vgpr2
                                        ; implicit-def: $vgpr5_vgpr6
.LBB7_167:
	s_andn2_saveexec_b64 s[0:1], s[0:1]
	s_cbranch_execz .LBB7_169
; %bb.168:
	s_mov_b32 s4, 0
	s_brev_b32 s5, 8
	v_cmp_lt_f64_e64 vcc, |v[1:2]|, s[4:5]
	v_mov_b32_e32 v3, 0x100
	v_mul_f64 v[7:8], v[7:8], -0.5
	v_cndmask_b32_e32 v3, 0, v3, vcc
	v_ldexp_f64 v[1:2], |v[1:2]|, v3
	v_mul_f64 v[5:6], v[5:6], v[7:8]
	v_rsq_f64_e32 v[3:4], v[1:2]
	v_mul_f64 v[10:11], v[1:2], v[3:4]
	v_mul_f64 v[3:4], v[3:4], 0.5
	v_fma_f64 v[12:13], -v[3:4], v[10:11], 0.5
	v_fma_f64 v[10:11], v[10:11], v[12:13], v[10:11]
	v_fma_f64 v[3:4], v[3:4], v[12:13], v[3:4]
	v_fma_f64 v[12:13], -v[10:11], v[10:11], v[1:2]
	v_fma_f64 v[10:11], v[12:13], v[3:4], v[10:11]
	v_fma_f64 v[12:13], -v[10:11], v[10:11], v[1:2]
	v_fma_f64 v[3:4], v[12:13], v[3:4], v[10:11]
	v_mov_b32_e32 v10, 0xffffff80
	v_mov_b32_e32 v11, 0x260
	v_cndmask_b32_e32 v10, 0, v10, vcc
	v_cmp_class_f64_e32 vcc, v[1:2], v11
	v_ldexp_f64 v[3:4], v[3:4], v10
	v_cndmask_b32_e32 v2, v4, v2, vcc
	v_cndmask_b32_e32 v1, v3, v1, vcc
	v_div_scale_f64 v[3:4], s[4:5], v[1:2], v[1:2], v[5:6]
	v_div_scale_f64 v[12:13], vcc, v[5:6], v[1:2], v[5:6]
	v_rcp_f64_e32 v[7:8], v[3:4]
	v_fma_f64 v[10:11], -v[3:4], v[7:8], 1.0
	v_fma_f64 v[7:8], v[7:8], v[10:11], v[7:8]
	v_fma_f64 v[10:11], -v[3:4], v[7:8], 1.0
	v_fma_f64 v[7:8], v[7:8], v[10:11], v[7:8]
	v_mul_f64 v[10:11], v[12:13], v[7:8]
	v_fma_f64 v[3:4], -v[3:4], v[10:11], v[12:13]
	v_div_fmas_f64 v[3:4], v[3:4], v[7:8], v[10:11]
	v_div_fixup_f64 v[3:4], v[3:4], v[1:2], v[5:6]
.LBB7_169:
	s_or_b64 exec, exec, s[0:1]
.LBB7_170:
	s_or_b64 exec, exec, s[2:3]
	v_add_u32_e32 v9, 0x80, v9
	global_store_dwordx2 v0, v[3:4], s[16:17]
	s_or_b64 exec, exec, s[48:49]
	v_cmp_gt_i32_e32 vcc, s55, v9
	s_and_saveexec_b64 s[48:49], vcc
	s_cbranch_execnz .LBB7_144
.LBB7_171:
	s_or_b64 exec, exec, s[48:49]
	v_cmp_gt_i32_e32 vcc, s55, v9
	s_and_saveexec_b64 s[48:49], vcc
	s_cbranch_execnz .LBB7_194
.LBB7_172:
	s_or_b64 exec, exec, s[48:49]
                                        ; implicit-def: $vgpr12
                                        ; implicit-def: $vgpr9
	s_andn2_saveexec_b64 s[0:1], s[38:39]
	s_cbranch_execnz .LBB7_8
.LBB7_173:
	s_endpgm
.LBB7_174:
	s_mov_b32 s57, 0
	v_mov_b32_e32 v0, 0
	v_mov_b32_e32 v2, 0
	;; [unrolled: 1-line block ×3, first 2 shown]
.LBB7_175:
	s_and_b32 s4, s58, 3
	s_cmp_eq_u32 s4, 0
	s_cbranch_scc1 .LBB7_178
; %bb.176:
	s_lshl_b32 s0, s57, 3
	s_add_u32 s0, s34, s0
	s_addc_u32 s1, s35, 0
	s_add_u32 s0, s0, 0xc4
	s_addc_u32 s1, s1, 0
	s_mul_i32 s2, s57, 12
	s_add_u32 s2, s34, s2
	s_addc_u32 s3, s35, 0
.LBB7_177:                              ; =>This Inner Loop Header: Depth=1
	s_load_dwordx2 s[6:7], s[2:3], 0x4
	s_load_dword s5, s[2:3], 0xc
	s_load_dwordx2 s[8:9], s[0:1], 0x0
	s_add_u32 s2, s2, 12
	s_addc_u32 s3, s3, 0
	s_waitcnt lgkmcnt(0)
	v_mul_hi_u32 v3, s7, v1
	s_add_u32 s0, s0, 8
	s_addc_u32 s1, s1, 0
	s_add_i32 s4, s4, -1
	v_add_u32_e32 v3, v1, v3
	v_lshrrev_b32_e32 v4, s5, v3
	v_mul_lo_u32 v3, v4, s6
	s_cmp_lg_u32 s4, 0
	v_sub_u32_e32 v3, v1, v3
	v_mad_u64_u32 v[0:1], s[6:7], v3, s8, v[0:1]
	v_mad_u64_u32 v[2:3], s[6:7], v3, s9, v[2:3]
	v_mov_b32_e32 v1, v4
	s_cbranch_scc1 .LBB7_177
.LBB7_178:
	s_cbranch_execnz .LBB7_181
.LBB7_179:
	s_waitcnt lgkmcnt(0)
	v_mul_hi_u32 v0, s25, v9
	s_andn2_b64 vcc, exec, s[42:43]
	v_add_u32_e32 v0, v9, v0
	v_lshrrev_b32_e32 v1, s26, v0
	v_mul_lo_u32 v0, v1, s24
	v_sub_u32_e32 v2, v9, v0
	v_mul_lo_u32 v0, v2, s20
	v_mul_lo_u32 v2, v2, s21
	s_cbranch_vccnz .LBB7_181
; %bb.180:
	v_mul_hi_u32 v3, s40, v1
	v_add_u32_e32 v3, v1, v3
	v_lshrrev_b32_e32 v3, s41, v3
	v_mul_lo_u32 v3, v3, s27
	v_sub_u32_e32 v3, v1, v3
	v_mad_u64_u32 v[0:1], s[0:1], v3, s22, v[0:1]
	v_mad_u64_u32 v[2:3], s[0:1], v3, s23, v[2:3]
.LBB7_181:
	s_waitcnt lgkmcnt(0)
	global_load_dwordx2 v[1:2], v2, s[18:19]
	s_mov_b32 s0, 0
	s_mov_b32 s1, 0x40200000
                                        ; implicit-def: $vgpr3_vgpr4
	s_waitcnt vmcnt(0)
	v_cmp_le_f64_e64 s[0:1], |v[1:2]|, s[0:1]
	s_and_saveexec_b64 s[2:3], s[0:1]
	s_xor_b64 s[0:1], exec, s[2:3]
	s_cbranch_execz .LBB7_187
; %bb.182:
	v_fma_f64 v[3:4], |v[1:2]|, 0.5, -2.0
	v_mov_b32_e32 v5, 0xc38a0576
	v_mov_b32_e32 v6, 0xbc7857d0
	s_mov_b32 s3, 0x3c499f2a
	s_mov_b32 s2, 0xc3c4014
	;; [unrolled: 1-line block ×4, first 2 shown]
	v_mov_b32_e32 v14, 0xfca7ab0c
	v_fma_f64 v[5:6], v[3:4], s[2:3], v[5:6]
	s_mov_b32 s3, 0xbc499f2a
	v_mov_b32_e32 v15, 0x3e928af3
	v_cmp_ngt_f64_e32 vcc, 0, v[1:2]
	v_fma_f64 v[7:8], v[3:4], v[5:6], s[2:3]
	s_mov_b32 s2, 0xe593bfac
	s_mov_b32 s3, 0x3ca663e3
	v_add_f64 v[7:8], v[7:8], s[2:3]
	s_mov_b32 s2, 0x7e0d1573
	s_mov_b32 s3, 0xbcd3eaaa
	v_fma_f64 v[5:6], v[3:4], v[7:8], -v[5:6]
	v_add_f64 v[5:6], v[5:6], s[2:3]
	s_mov_b32 s2, 0x615290c
	s_mov_b32 s3, 0x3d011d7f
	v_fma_f64 v[7:8], v[3:4], v[5:6], -v[7:8]
	;; [unrolled: 4-line block ×20, first 2 shown]
	v_add_f64 v[7:8], v[7:8], s[2:3]
	s_mov_b32 s2, 0x652b82fe
	s_mov_b32 s3, 0x3ff71547
	v_mul_f64 v[10:11], |v[1:2]|, s[2:3]
	s_mov_b32 s2, 0x7913a26a
	s_mov_b32 s3, 0xbf85a29f
	v_fma_f64 v[5:6], v[3:4], v[7:8], -v[5:6]
	v_rndne_f64_e32 v[10:11], v[10:11]
	v_add_f64 v[5:6], v[5:6], s[2:3]
	s_mov_b32 s2, 0xfefa39ef
	s_mov_b32 s3, 0xbfe62e42
	v_fma_f64 v[12:13], v[10:11], s[2:3], |v[1:2]|
	s_mov_b32 s2, 0xe7bb2349
	s_mov_b32 s3, 0x3f9951e3
	v_fma_f64 v[7:8], v[3:4], v[5:6], -v[7:8]
	v_fma_f64 v[12:13], v[10:11], s[4:5], v[12:13]
	s_mov_b32 s4, 0x623fde64
	s_mov_b32 s5, 0x3ec71dee
	v_cvt_i32_f64_e32 v10, v[10:11]
	v_add_f64 v[7:8], v[7:8], s[2:3]
	s_mov_b32 s2, 0x6a5dcb37
	s_mov_b32 s3, 0x3e5ade15
	v_fma_f64 v[14:15], v[12:13], s[2:3], v[14:15]
	s_mov_b32 s2, 0x537c9ebc
	s_mov_b32 s3, 0xbfab1bbc
	v_fma_f64 v[5:6], v[3:4], v[7:8], -v[5:6]
	v_fma_f64 v[14:15], v[12:13], v[14:15], s[4:5]
	s_mov_b32 s4, 0x14761f6e
	s_mov_b32 s5, 0x3f2a01a0
	v_add_f64 v[5:6], v[5:6], s[2:3]
	s_mov_b32 s2, 0x7c89e6b0
	s_mov_b32 s3, 0x3efa0199
	v_fma_f64 v[14:15], v[12:13], v[14:15], s[2:3]
	s_mov_b32 s2, 0xd536f53c
	s_mov_b32 s3, 0x3fba46da
	v_fma_f64 v[7:8], v[3:4], v[5:6], -v[7:8]
	v_fma_f64 v[14:15], v[12:13], v[14:15], s[4:5]
	s_mov_b32 s4, 0x11122322
	s_mov_b32 s5, 0x3f811111
	;; [unrolled: 10-line block ×3, first 2 shown]
	v_add_f64 v[5:6], v[5:6], s[2:3]
	s_mov_b32 s2, 0x555502a1
	s_mov_b32 s3, 0x3fa55555
	v_fma_f64 v[3:4], v[3:4], v[5:6], -v[7:8]
	v_fma_f64 v[5:6], v[12:13], v[14:15], s[2:3]
	s_mov_b32 s2, 0x724a7ffa
	s_mov_b32 s3, 0x3fd02a63
	v_add_f64 v[3:4], v[3:4], s[2:3]
	v_fma_f64 v[5:6], v[12:13], v[5:6], s[4:5]
	s_mov_b32 s2, 11
	s_mov_b32 s3, 0x3fe00000
	v_add_f64 v[3:4], v[3:4], -v[7:8]
	v_fma_f64 v[5:6], v[12:13], v[5:6], s[2:3]
	v_mul_f64 v[3:4], v[3:4], 0.5
	v_fma_f64 v[7:8], v[12:13], v[5:6], 1.0
	v_mul_f64 v[5:6], |v[1:2]|, v[3:4]
	v_fma_f64 v[7:8], v[12:13], v[7:8], 1.0
                                        ; implicit-def: $vgpr3_vgpr4
	s_and_saveexec_b64 s[2:3], vcc
	s_xor_b64 s[2:3], exec, s[2:3]
	s_cbranch_execz .LBB7_184
; %bb.183:
	s_mov_b32 s4, 0
	s_mov_b32 s5, 0x40900000
	v_ldexp_f64 v[3:4], v[7:8], v10
	v_cmp_ngt_f64_e64 vcc, |v[1:2]|, s[4:5]
	v_mov_b32_e32 v7, 0x7ff00000
                                        ; implicit-def: $vgpr10
	v_cndmask_b32_e32 v2, v7, v4, vcc
	v_cndmask_b32_e32 v1, 0, v3, vcc
	v_mul_f64 v[3:4], v[1:2], v[5:6]
                                        ; implicit-def: $vgpr7_vgpr8
                                        ; implicit-def: $vgpr1_vgpr2
                                        ; implicit-def: $vgpr5_vgpr6
.LBB7_184:
	s_andn2_saveexec_b64 s[2:3], s[2:3]
	s_cbranch_execz .LBB7_186
; %bb.185:
	s_mov_b32 s4, 0
	s_mov_b32 s5, 0x40900000
	v_ldexp_f64 v[3:4], -v[7:8], v10
	v_cmp_ngt_f64_e64 vcc, |v[1:2]|, s[4:5]
	v_mov_b32_e32 v7, 0xfff00000
	v_cndmask_b32_e32 v2, v7, v4, vcc
	v_cndmask_b32_e32 v1, 0, v3, vcc
	v_mul_f64 v[3:4], v[1:2], v[5:6]
.LBB7_186:
	s_or_b64 exec, exec, s[2:3]
                                        ; implicit-def: $vgpr1_vgpr2
.LBB7_187:
	s_andn2_saveexec_b64 s[2:3], s[0:1]
	s_cbranch_execz .LBB7_193
; %bb.188:
	s_mov_b32 s0, 0
	v_and_b32_e32 v4, 0x7fffffff, v2
	v_mov_b32_e32 v3, v1
	s_mov_b32 s1, 0x40400000
	v_div_scale_f64 v[5:6], s[4:5], v[3:4], v[3:4], s[0:1]
	v_div_scale_f64 v[3:4], vcc, s[0:1], v[3:4], s[0:1]
	v_mov_b32_e32 v14, 0xfca7ab0c
	v_mov_b32_e32 v15, 0x3e928af3
	v_rcp_f64_e32 v[7:8], v[5:6]
	v_fma_f64 v[10:11], -v[5:6], v[7:8], 1.0
	v_fma_f64 v[7:8], v[7:8], v[10:11], v[7:8]
	v_fma_f64 v[10:11], -v[5:6], v[7:8], 1.0
	v_fma_f64 v[7:8], v[7:8], v[10:11], v[7:8]
	v_mul_f64 v[10:11], v[3:4], v[7:8]
	v_fma_f64 v[3:4], -v[5:6], v[10:11], v[3:4]
	v_mov_b32_e32 v5, 0xea87b950
	v_mov_b32_e32 v6, 0x3c545b8a
	v_div_fmas_f64 v[3:4], v[3:4], v[7:8], v[10:11]
	v_cmp_ngt_f64_e32 vcc, 0, v[1:2]
	v_div_fixup_f64 v[3:4], v[3:4], |v[1:2]|, s[0:1]
	s_mov_b32 s1, 0x3c61556d
	s_mov_b32 s0, 0xb352e8e6
	v_add_f64 v[3:4], v[3:4], -2.0
	v_fma_f64 v[5:6], v[3:4], s[0:1], v[5:6]
	s_mov_b32 s1, 0xbc61556d
	v_fma_f64 v[7:8], v[3:4], v[5:6], s[0:1]
	s_mov_b32 s0, 0xb2532277
	s_mov_b32 s1, 0xbc8acea3
	v_add_f64 v[7:8], v[7:8], s[0:1]
	s_mov_b32 s0, 0x9c773320
	s_mov_b32 s1, 0xbc82806c
	v_fma_f64 v[5:6], v[3:4], v[7:8], -v[5:6]
	v_add_f64 v[5:6], v[5:6], s[0:1]
	s_mov_b32 s0, 0xfceb588a
	s_mov_b32 s1, 0x3cb55915
	v_fma_f64 v[7:8], v[3:4], v[5:6], -v[7:8]
	;; [unrolled: 4-line block ×14, first 2 shown]
	v_add_f64 v[7:8], v[7:8], s[0:1]
	s_mov_b32 s0, 0x652b82fe
	s_mov_b32 s1, 0x3ff71547
	v_mul_f64 v[10:11], |v[1:2]|, s[0:1]
	s_mov_b32 s0, 0x5423dd80
	s_mov_b32 s1, 0xbe0334ca
	v_fma_f64 v[5:6], v[3:4], v[7:8], -v[5:6]
	v_rndne_f64_e32 v[10:11], v[10:11]
	v_add_f64 v[5:6], v[5:6], s[0:1]
	s_mov_b32 s0, 0xfefa39ef
	s_mov_b32 s1, 0xbfe62e42
	v_fma_f64 v[12:13], v[10:11], s[0:1], |v[1:2]|
	s_mov_b32 s0, 0x9ad53528
	s_mov_b32 s1, 0xbe30790b
	v_fma_f64 v[7:8], v[3:4], v[5:6], -v[7:8]
	v_add_f64 v[7:8], v[7:8], s[0:1]
	s_mov_b32 s0, 0x3b39803f
	s_mov_b32 s1, 0xbc7abc9e
	v_fma_f64 v[12:13], v[10:11], s[0:1], v[12:13]
	s_mov_b32 s0, 0x6a5dcb37
	s_mov_b32 s1, 0x3e5ade15
	v_cvt_i32_f64_e32 v10, v[10:11]
	v_fma_f64 v[5:6], v[3:4], v[7:8], -v[5:6]
	v_fma_f64 v[14:15], v[12:13], s[0:1], v[14:15]
	s_mov_b32 s0, 0x94bb46c1
	s_mov_b32 s1, 0xbe5c4153
	v_add_f64 v[5:6], v[5:6], s[0:1]
	s_mov_b32 s0, 0x623fde64
	s_mov_b32 s1, 0x3ec71dee
	v_fma_f64 v[14:15], v[12:13], v[14:15], s[0:1]
	s_mov_b32 s0, 0x7c89e6b0
	s_mov_b32 s1, 0x3efa0199
	v_fma_f64 v[7:8], v[3:4], v[5:6], -v[7:8]
	v_fma_f64 v[14:15], v[12:13], v[14:15], s[0:1]
	s_mov_b32 s0, 0x2e9e5443
	s_mov_b32 s1, 0xbe90dbfd
	v_add_f64 v[7:8], v[7:8], s[0:1]
	s_mov_b32 s0, 0x14761f6e
	s_mov_b32 s1, 0x3f2a01a0
	v_fma_f64 v[14:15], v[12:13], v[14:15], s[0:1]
	s_mov_b32 s0, 0x1852b7b0
	s_mov_b32 s1, 0x3f56c16c
	;; [unrolled: 10-line block ×4, first 2 shown]
	v_fma_f64 v[5:6], v[3:4], v[7:8], -v[5:6]
	v_fma_f64 v[14:15], v[12:13], v[14:15], s[0:1]
	s_mov_b32 s0, 0x53fcdb4c
	s_mov_b32 s1, 0xbf83fda0
	v_add_f64 v[5:6], v[5:6], s[0:1]
	s_mov_b32 s0, 0xb55b1514
	s_mov_b32 s1, 0x3fe8ea18
	v_fma_f64 v[14:15], v[12:13], v[14:15], 1.0
	v_fma_f64 v[3:4], v[3:4], v[5:6], -v[7:8]
	v_fma_f64 v[5:6], v[12:13], v[14:15], 1.0
	v_add_f64 v[3:4], v[3:4], s[0:1]
	s_mov_b32 s0, 0
	s_mov_b32 s1, 0x40900000
	v_ldexp_f64 v[5:6], v[5:6], v10
	v_cmp_ngt_f64_e64 s[0:1], |v[1:2]|, s[0:1]
	v_mov_b32_e32 v10, 0x7ff00000
	v_add_f64 v[7:8], v[3:4], -v[7:8]
                                        ; implicit-def: $vgpr3_vgpr4
	v_cndmask_b32_e64 v6, v10, v6, s[0:1]
	v_cndmask_b32_e64 v5, 0, v5, s[0:1]
	s_and_saveexec_b64 s[0:1], vcc
	s_xor_b64 s[0:1], exec, s[0:1]
	s_cbranch_execz .LBB7_190
; %bb.189:
	s_mov_b32 s4, 0
	s_brev_b32 s5, 8
	v_cmp_lt_f64_e64 vcc, |v[1:2]|, s[4:5]
	v_mov_b32_e32 v3, 0x100
	v_mul_f64 v[7:8], v[7:8], 0.5
	v_cndmask_b32_e32 v3, 0, v3, vcc
	v_ldexp_f64 v[1:2], |v[1:2]|, v3
	v_mul_f64 v[5:6], v[5:6], v[7:8]
	v_rsq_f64_e32 v[3:4], v[1:2]
	v_mul_f64 v[10:11], v[1:2], v[3:4]
	v_mul_f64 v[3:4], v[3:4], 0.5
	v_fma_f64 v[12:13], -v[3:4], v[10:11], 0.5
	v_fma_f64 v[10:11], v[10:11], v[12:13], v[10:11]
	v_fma_f64 v[3:4], v[3:4], v[12:13], v[3:4]
	v_fma_f64 v[12:13], -v[10:11], v[10:11], v[1:2]
	v_fma_f64 v[10:11], v[12:13], v[3:4], v[10:11]
	v_fma_f64 v[12:13], -v[10:11], v[10:11], v[1:2]
	v_fma_f64 v[3:4], v[12:13], v[3:4], v[10:11]
	v_mov_b32_e32 v10, 0xffffff80
	v_mov_b32_e32 v11, 0x260
	v_cndmask_b32_e32 v10, 0, v10, vcc
	v_cmp_class_f64_e32 vcc, v[1:2], v11
	v_ldexp_f64 v[3:4], v[3:4], v10
	v_cndmask_b32_e32 v2, v4, v2, vcc
	v_cndmask_b32_e32 v1, v3, v1, vcc
	v_div_scale_f64 v[3:4], s[4:5], v[1:2], v[1:2], v[5:6]
	v_div_scale_f64 v[12:13], vcc, v[5:6], v[1:2], v[5:6]
	v_rcp_f64_e32 v[7:8], v[3:4]
	v_fma_f64 v[10:11], -v[3:4], v[7:8], 1.0
	v_fma_f64 v[7:8], v[7:8], v[10:11], v[7:8]
	v_fma_f64 v[10:11], -v[3:4], v[7:8], 1.0
	v_fma_f64 v[7:8], v[7:8], v[10:11], v[7:8]
	v_mul_f64 v[10:11], v[12:13], v[7:8]
	v_fma_f64 v[3:4], -v[3:4], v[10:11], v[12:13]
	v_div_fmas_f64 v[3:4], v[3:4], v[7:8], v[10:11]
                                        ; implicit-def: $vgpr7_vgpr8
	v_div_fixup_f64 v[3:4], v[3:4], v[1:2], v[5:6]
                                        ; implicit-def: $vgpr1_vgpr2
                                        ; implicit-def: $vgpr5_vgpr6
.LBB7_190:
	s_andn2_saveexec_b64 s[0:1], s[0:1]
	s_cbranch_execz .LBB7_192
; %bb.191:
	s_mov_b32 s4, 0
	s_brev_b32 s5, 8
	v_cmp_lt_f64_e64 vcc, |v[1:2]|, s[4:5]
	v_mov_b32_e32 v3, 0x100
	v_mul_f64 v[7:8], v[7:8], -0.5
	v_cndmask_b32_e32 v3, 0, v3, vcc
	v_ldexp_f64 v[1:2], |v[1:2]|, v3
	v_mul_f64 v[5:6], v[5:6], v[7:8]
	v_rsq_f64_e32 v[3:4], v[1:2]
	v_mul_f64 v[10:11], v[1:2], v[3:4]
	v_mul_f64 v[3:4], v[3:4], 0.5
	v_fma_f64 v[12:13], -v[3:4], v[10:11], 0.5
	v_fma_f64 v[10:11], v[10:11], v[12:13], v[10:11]
	v_fma_f64 v[3:4], v[3:4], v[12:13], v[3:4]
	v_fma_f64 v[12:13], -v[10:11], v[10:11], v[1:2]
	v_fma_f64 v[10:11], v[12:13], v[3:4], v[10:11]
	v_fma_f64 v[12:13], -v[10:11], v[10:11], v[1:2]
	v_fma_f64 v[3:4], v[12:13], v[3:4], v[10:11]
	v_mov_b32_e32 v10, 0xffffff80
	v_mov_b32_e32 v11, 0x260
	v_cndmask_b32_e32 v10, 0, v10, vcc
	v_cmp_class_f64_e32 vcc, v[1:2], v11
	v_ldexp_f64 v[3:4], v[3:4], v10
	v_cndmask_b32_e32 v2, v4, v2, vcc
	v_cndmask_b32_e32 v1, v3, v1, vcc
	v_div_scale_f64 v[3:4], s[4:5], v[1:2], v[1:2], v[5:6]
	v_div_scale_f64 v[12:13], vcc, v[5:6], v[1:2], v[5:6]
	v_rcp_f64_e32 v[7:8], v[3:4]
	v_fma_f64 v[10:11], -v[3:4], v[7:8], 1.0
	v_fma_f64 v[7:8], v[7:8], v[10:11], v[7:8]
	v_fma_f64 v[10:11], -v[3:4], v[7:8], 1.0
	v_fma_f64 v[7:8], v[7:8], v[10:11], v[7:8]
	v_mul_f64 v[10:11], v[12:13], v[7:8]
	v_fma_f64 v[3:4], -v[3:4], v[10:11], v[12:13]
	v_div_fmas_f64 v[3:4], v[3:4], v[7:8], v[10:11]
	v_div_fixup_f64 v[3:4], v[3:4], v[1:2], v[5:6]
.LBB7_192:
	s_or_b64 exec, exec, s[0:1]
.LBB7_193:
	s_or_b64 exec, exec, s[2:3]
	v_add_u32_e32 v9, 0x80, v9
	global_store_dwordx2 v0, v[3:4], s[16:17]
	s_or_b64 exec, exec, s[48:49]
	v_cmp_gt_i32_e32 vcc, s55, v9
	s_and_saveexec_b64 s[48:49], vcc
	s_cbranch_execz .LBB7_172
.LBB7_194:
	s_andn2_b64 vcc, exec, s[36:37]
	s_cbranch_vccnz .LBB7_199
; %bb.195:
	s_andn2_b64 vcc, exec, s[46:47]
	s_cbranch_vccnz .LBB7_200
; %bb.196:
	s_add_i32 s56, s56, 1
	s_cmp_eq_u32 s54, 2
	s_cbranch_scc1 .LBB7_201
; %bb.197:
	s_and_b32 s50, s56, 28
	v_mov_b32_e32 v2, 0
	s_mov_b32 s51, 0
	s_mov_b64 s[46:47], s[34:35]
	v_mov_b32_e32 v0, 0
	v_mov_b32_e32 v1, v9
.LBB7_198:                              ; =>This Inner Loop Header: Depth=1
	s_load_dwordx8 s[8:15], s[46:47], 0x4
	s_load_dwordx4 s[28:31], s[46:47], 0x24
	s_load_dwordx8 s[0:7], s[44:45], 0x0
	s_add_u32 s46, s46, 48
	s_addc_u32 s47, s47, 0
	s_waitcnt lgkmcnt(0)
	v_mul_hi_u32 v3, s9, v1
	s_add_i32 s51, s51, 4
	s_add_u32 s44, s44, 32
	s_addc_u32 s45, s45, 0
	v_add_u32_e32 v3, v1, v3
	v_lshrrev_b32_e32 v3, s10, v3
	v_mul_lo_u32 v4, v3, s8
	v_mul_hi_u32 v5, s12, v3
	s_cmp_eq_u32 s50, s51
	v_sub_u32_e32 v1, v1, v4
	v_add_u32_e32 v4, v3, v5
	v_mul_lo_u32 v5, v1, s0
	v_mul_lo_u32 v6, v1, s1
	v_lshrrev_b32_e32 v1, s13, v4
	v_mul_lo_u32 v4, v1, s11
	v_mul_hi_u32 v7, s15, v1
	v_sub_u32_e32 v3, v3, v4
	v_add_u32_e32 v4, v1, v7
	v_lshrrev_b32_e32 v4, s28, v4
	v_mul_hi_u32 v8, s30, v4
	v_mul_lo_u32 v10, v4, s14
	v_mul_lo_u32 v7, v3, s2
	;; [unrolled: 1-line block ×3, first 2 shown]
	v_sub_u32_e32 v10, v1, v10
	v_add_u32_e32 v1, v4, v8
	v_lshrrev_b32_e32 v1, s31, v1
	v_mul_lo_u32 v8, v1, s29
	v_mul_lo_u32 v11, v10, s4
	;; [unrolled: 1-line block ×3, first 2 shown]
	v_add3_u32 v0, v5, v0, v7
	v_sub_u32_e32 v4, v4, v8
	v_mul_lo_u32 v8, v4, s6
	v_mul_lo_u32 v4, v4, s7
	v_add3_u32 v2, v6, v2, v3
	v_add3_u32 v0, v11, v0, v8
	;; [unrolled: 1-line block ×3, first 2 shown]
	s_cbranch_scc0 .LBB7_198
	s_branch .LBB7_202
.LBB7_199:
                                        ; implicit-def: $vgpr0
                                        ; implicit-def: $vgpr2
	s_branch .LBB7_206
.LBB7_200:
	v_mov_b32_e32 v0, 0
	v_mov_b32_e32 v2, 0
	s_branch .LBB7_205
.LBB7_201:
	s_mov_b32 s50, 0
	v_mov_b32_e32 v0, 0
	v_mov_b32_e32 v2, 0
	;; [unrolled: 1-line block ×3, first 2 shown]
.LBB7_202:
	s_and_b32 s4, s56, 3
	s_cmp_eq_u32 s4, 0
	s_cbranch_scc1 .LBB7_205
; %bb.203:
	s_lshl_b32 s0, s50, 3
	s_add_u32 s0, s34, s0
	s_addc_u32 s1, s35, 0
	s_add_u32 s0, s0, 0xc4
	s_addc_u32 s1, s1, 0
	s_mul_i32 s2, s50, 12
	s_add_u32 s2, s34, s2
	s_addc_u32 s3, s35, 0
.LBB7_204:                              ; =>This Inner Loop Header: Depth=1
	s_load_dwordx2 s[6:7], s[2:3], 0x4
	s_load_dword s5, s[2:3], 0xc
	s_load_dwordx2 s[8:9], s[0:1], 0x0
	s_add_u32 s2, s2, 12
	s_addc_u32 s3, s3, 0
	s_waitcnt lgkmcnt(0)
	v_mul_hi_u32 v3, s7, v1
	s_add_u32 s0, s0, 8
	s_addc_u32 s1, s1, 0
	s_add_i32 s4, s4, -1
	v_add_u32_e32 v3, v1, v3
	v_lshrrev_b32_e32 v4, s5, v3
	v_mul_lo_u32 v3, v4, s6
	s_cmp_lg_u32 s4, 0
	v_sub_u32_e32 v3, v1, v3
	v_mad_u64_u32 v[0:1], s[6:7], v3, s8, v[0:1]
	v_mad_u64_u32 v[2:3], s[6:7], v3, s9, v[2:3]
	v_mov_b32_e32 v1, v4
	s_cbranch_scc1 .LBB7_204
.LBB7_205:
	s_cbranch_execnz .LBB7_208
.LBB7_206:
	s_waitcnt lgkmcnt(0)
	v_mul_hi_u32 v0, s25, v9
	s_andn2_b64 vcc, exec, s[42:43]
	v_add_u32_e32 v0, v9, v0
	v_lshrrev_b32_e32 v1, s26, v0
	v_mul_lo_u32 v0, v1, s24
	v_sub_u32_e32 v2, v9, v0
	v_mul_lo_u32 v0, v2, s20
	v_mul_lo_u32 v2, v2, s21
	s_cbranch_vccnz .LBB7_208
; %bb.207:
	v_mul_hi_u32 v3, s40, v1
	v_add_u32_e32 v3, v1, v3
	v_lshrrev_b32_e32 v3, s41, v3
	v_mul_lo_u32 v3, v3, s27
	v_sub_u32_e32 v3, v1, v3
	v_mad_u64_u32 v[0:1], s[0:1], v3, s22, v[0:1]
	v_mad_u64_u32 v[2:3], s[0:1], v3, s23, v[2:3]
.LBB7_208:
	s_waitcnt lgkmcnt(0)
	global_load_dwordx2 v[1:2], v2, s[18:19]
	s_mov_b32 s0, 0
	s_mov_b32 s1, 0x40200000
                                        ; implicit-def: $vgpr3_vgpr4
	s_waitcnt vmcnt(0)
	v_cmp_le_f64_e64 s[0:1], |v[1:2]|, s[0:1]
	s_and_saveexec_b64 s[2:3], s[0:1]
	s_xor_b64 s[0:1], exec, s[2:3]
	s_cbranch_execz .LBB7_214
; %bb.209:
	v_fma_f64 v[3:4], |v[1:2]|, 0.5, -2.0
	v_mov_b32_e32 v5, 0xc38a0576
	v_mov_b32_e32 v6, 0xbc7857d0
	s_mov_b32 s3, 0x3c499f2a
	s_mov_b32 s2, 0xc3c4014
	;; [unrolled: 1-line block ×4, first 2 shown]
	v_mov_b32_e32 v13, 0xfca7ab0c
	v_fma_f64 v[5:6], v[3:4], s[2:3], v[5:6]
	s_mov_b32 s3, 0xbc499f2a
	v_mov_b32_e32 v14, 0x3e928af3
	v_cmp_ngt_f64_e32 vcc, 0, v[1:2]
	v_fma_f64 v[7:8], v[3:4], v[5:6], s[2:3]
	s_mov_b32 s2, 0xe593bfac
	s_mov_b32 s3, 0x3ca663e3
	v_add_f64 v[7:8], v[7:8], s[2:3]
	s_mov_b32 s2, 0x7e0d1573
	s_mov_b32 s3, 0xbcd3eaaa
	v_fma_f64 v[5:6], v[3:4], v[7:8], -v[5:6]
	v_add_f64 v[5:6], v[5:6], s[2:3]
	s_mov_b32 s2, 0x615290c
	s_mov_b32 s3, 0x3d011d7f
	v_fma_f64 v[7:8], v[3:4], v[5:6], -v[7:8]
	;; [unrolled: 4-line block ×20, first 2 shown]
	v_add_f64 v[7:8], v[7:8], s[2:3]
	s_mov_b32 s2, 0x652b82fe
	s_mov_b32 s3, 0x3ff71547
	v_mul_f64 v[9:10], |v[1:2]|, s[2:3]
	s_mov_b32 s2, 0x7913a26a
	s_mov_b32 s3, 0xbf85a29f
	v_fma_f64 v[5:6], v[3:4], v[7:8], -v[5:6]
	v_rndne_f64_e32 v[9:10], v[9:10]
	v_add_f64 v[5:6], v[5:6], s[2:3]
	s_mov_b32 s2, 0xfefa39ef
	s_mov_b32 s3, 0xbfe62e42
	v_fma_f64 v[11:12], v[9:10], s[2:3], |v[1:2]|
	s_mov_b32 s2, 0xe7bb2349
	s_mov_b32 s3, 0x3f9951e3
	v_fma_f64 v[7:8], v[3:4], v[5:6], -v[7:8]
	v_fma_f64 v[11:12], v[9:10], s[4:5], v[11:12]
	s_mov_b32 s4, 0x623fde64
	s_mov_b32 s5, 0x3ec71dee
	v_cvt_i32_f64_e32 v9, v[9:10]
	v_add_f64 v[7:8], v[7:8], s[2:3]
	s_mov_b32 s2, 0x6a5dcb37
	s_mov_b32 s3, 0x3e5ade15
	v_fma_f64 v[13:14], v[11:12], s[2:3], v[13:14]
	s_mov_b32 s2, 0x537c9ebc
	s_mov_b32 s3, 0xbfab1bbc
	v_fma_f64 v[5:6], v[3:4], v[7:8], -v[5:6]
	v_fma_f64 v[13:14], v[11:12], v[13:14], s[4:5]
	s_mov_b32 s4, 0x14761f6e
	s_mov_b32 s5, 0x3f2a01a0
	v_add_f64 v[5:6], v[5:6], s[2:3]
	s_mov_b32 s2, 0x7c89e6b0
	s_mov_b32 s3, 0x3efa0199
	v_fma_f64 v[13:14], v[11:12], v[13:14], s[2:3]
	s_mov_b32 s2, 0xd536f53c
	s_mov_b32 s3, 0x3fba46da
	v_fma_f64 v[7:8], v[3:4], v[5:6], -v[7:8]
	v_fma_f64 v[13:14], v[11:12], v[13:14], s[4:5]
	s_mov_b32 s4, 0x11122322
	s_mov_b32 s5, 0x3f811111
	;; [unrolled: 10-line block ×3, first 2 shown]
	v_add_f64 v[5:6], v[5:6], s[2:3]
	s_mov_b32 s2, 0x555502a1
	s_mov_b32 s3, 0x3fa55555
	v_fma_f64 v[3:4], v[3:4], v[5:6], -v[7:8]
	v_fma_f64 v[5:6], v[11:12], v[13:14], s[2:3]
	s_mov_b32 s2, 0x724a7ffa
	s_mov_b32 s3, 0x3fd02a63
	v_add_f64 v[3:4], v[3:4], s[2:3]
	v_fma_f64 v[5:6], v[11:12], v[5:6], s[4:5]
	s_mov_b32 s2, 11
	s_mov_b32 s3, 0x3fe00000
	v_add_f64 v[3:4], v[3:4], -v[7:8]
	v_fma_f64 v[5:6], v[11:12], v[5:6], s[2:3]
	v_mul_f64 v[3:4], v[3:4], 0.5
	v_fma_f64 v[7:8], v[11:12], v[5:6], 1.0
	v_mul_f64 v[5:6], |v[1:2]|, v[3:4]
	v_fma_f64 v[7:8], v[11:12], v[7:8], 1.0
                                        ; implicit-def: $vgpr3_vgpr4
	s_and_saveexec_b64 s[2:3], vcc
	s_xor_b64 s[2:3], exec, s[2:3]
	s_cbranch_execz .LBB7_211
; %bb.210:
	s_mov_b32 s4, 0
	s_mov_b32 s5, 0x40900000
	v_ldexp_f64 v[3:4], v[7:8], v9
	v_cmp_ngt_f64_e64 vcc, |v[1:2]|, s[4:5]
	v_mov_b32_e32 v7, 0x7ff00000
                                        ; implicit-def: $vgpr9
	v_cndmask_b32_e32 v2, v7, v4, vcc
	v_cndmask_b32_e32 v1, 0, v3, vcc
	v_mul_f64 v[3:4], v[1:2], v[5:6]
                                        ; implicit-def: $vgpr7_vgpr8
                                        ; implicit-def: $vgpr1_vgpr2
                                        ; implicit-def: $vgpr5_vgpr6
.LBB7_211:
	s_andn2_saveexec_b64 s[2:3], s[2:3]
	s_cbranch_execz .LBB7_213
; %bb.212:
	s_mov_b32 s4, 0
	s_mov_b32 s5, 0x40900000
	v_ldexp_f64 v[3:4], -v[7:8], v9
	v_cmp_ngt_f64_e64 vcc, |v[1:2]|, s[4:5]
	v_mov_b32_e32 v7, 0xfff00000
	v_cndmask_b32_e32 v2, v7, v4, vcc
	v_cndmask_b32_e32 v1, 0, v3, vcc
	v_mul_f64 v[3:4], v[1:2], v[5:6]
.LBB7_213:
	s_or_b64 exec, exec, s[2:3]
                                        ; implicit-def: $vgpr1_vgpr2
.LBB7_214:
	s_andn2_saveexec_b64 s[2:3], s[0:1]
	s_cbranch_execz .LBB7_220
; %bb.215:
	s_mov_b32 s0, 0
	v_and_b32_e32 v4, 0x7fffffff, v2
	v_mov_b32_e32 v3, v1
	s_mov_b32 s1, 0x40400000
	v_div_scale_f64 v[5:6], s[4:5], v[3:4], v[3:4], s[0:1]
	v_div_scale_f64 v[3:4], vcc, s[0:1], v[3:4], s[0:1]
	v_mov_b32_e32 v13, 0xfca7ab0c
	v_mov_b32_e32 v14, 0x3e928af3
	v_rcp_f64_e32 v[7:8], v[5:6]
	v_fma_f64 v[9:10], -v[5:6], v[7:8], 1.0
	v_fma_f64 v[7:8], v[7:8], v[9:10], v[7:8]
	v_fma_f64 v[9:10], -v[5:6], v[7:8], 1.0
	v_fma_f64 v[7:8], v[7:8], v[9:10], v[7:8]
	v_mul_f64 v[9:10], v[3:4], v[7:8]
	v_fma_f64 v[3:4], -v[5:6], v[9:10], v[3:4]
	v_mov_b32_e32 v5, 0xea87b950
	v_mov_b32_e32 v6, 0x3c545b8a
	v_div_fmas_f64 v[3:4], v[3:4], v[7:8], v[9:10]
	v_cmp_ngt_f64_e32 vcc, 0, v[1:2]
	v_div_fixup_f64 v[3:4], v[3:4], |v[1:2]|, s[0:1]
	s_mov_b32 s1, 0x3c61556d
	s_mov_b32 s0, 0xb352e8e6
	v_add_f64 v[3:4], v[3:4], -2.0
	v_fma_f64 v[5:6], v[3:4], s[0:1], v[5:6]
	s_mov_b32 s1, 0xbc61556d
	v_fma_f64 v[7:8], v[3:4], v[5:6], s[0:1]
	s_mov_b32 s0, 0xb2532277
	s_mov_b32 s1, 0xbc8acea3
	v_add_f64 v[7:8], v[7:8], s[0:1]
	s_mov_b32 s0, 0x9c773320
	s_mov_b32 s1, 0xbc82806c
	v_fma_f64 v[5:6], v[3:4], v[7:8], -v[5:6]
	v_add_f64 v[5:6], v[5:6], s[0:1]
	s_mov_b32 s0, 0xfceb588a
	s_mov_b32 s1, 0x3cb55915
	v_fma_f64 v[7:8], v[3:4], v[5:6], -v[7:8]
	;; [unrolled: 4-line block ×14, first 2 shown]
	v_add_f64 v[7:8], v[7:8], s[0:1]
	s_mov_b32 s0, 0x652b82fe
	s_mov_b32 s1, 0x3ff71547
	v_mul_f64 v[9:10], |v[1:2]|, s[0:1]
	s_mov_b32 s0, 0x5423dd80
	s_mov_b32 s1, 0xbe0334ca
	v_fma_f64 v[5:6], v[3:4], v[7:8], -v[5:6]
	v_rndne_f64_e32 v[9:10], v[9:10]
	v_add_f64 v[5:6], v[5:6], s[0:1]
	s_mov_b32 s0, 0xfefa39ef
	s_mov_b32 s1, 0xbfe62e42
	v_fma_f64 v[11:12], v[9:10], s[0:1], |v[1:2]|
	s_mov_b32 s0, 0x9ad53528
	s_mov_b32 s1, 0xbe30790b
	v_fma_f64 v[7:8], v[3:4], v[5:6], -v[7:8]
	v_add_f64 v[7:8], v[7:8], s[0:1]
	s_mov_b32 s0, 0x3b39803f
	s_mov_b32 s1, 0xbc7abc9e
	v_fma_f64 v[11:12], v[9:10], s[0:1], v[11:12]
	s_mov_b32 s0, 0x6a5dcb37
	s_mov_b32 s1, 0x3e5ade15
	v_cvt_i32_f64_e32 v9, v[9:10]
	v_fma_f64 v[5:6], v[3:4], v[7:8], -v[5:6]
	v_fma_f64 v[13:14], v[11:12], s[0:1], v[13:14]
	s_mov_b32 s0, 0x94bb46c1
	s_mov_b32 s1, 0xbe5c4153
	v_add_f64 v[5:6], v[5:6], s[0:1]
	s_mov_b32 s0, 0x623fde64
	s_mov_b32 s1, 0x3ec71dee
	v_fma_f64 v[13:14], v[11:12], v[13:14], s[0:1]
	s_mov_b32 s0, 0x7c89e6b0
	s_mov_b32 s1, 0x3efa0199
	v_fma_f64 v[7:8], v[3:4], v[5:6], -v[7:8]
	v_fma_f64 v[13:14], v[11:12], v[13:14], s[0:1]
	s_mov_b32 s0, 0x2e9e5443
	s_mov_b32 s1, 0xbe90dbfd
	v_add_f64 v[7:8], v[7:8], s[0:1]
	s_mov_b32 s0, 0x14761f6e
	s_mov_b32 s1, 0x3f2a01a0
	v_fma_f64 v[13:14], v[11:12], v[13:14], s[0:1]
	s_mov_b32 s0, 0x1852b7b0
	s_mov_b32 s1, 0x3f56c16c
	;; [unrolled: 10-line block ×4, first 2 shown]
	v_fma_f64 v[5:6], v[3:4], v[7:8], -v[5:6]
	v_fma_f64 v[13:14], v[11:12], v[13:14], s[0:1]
	s_mov_b32 s0, 0x53fcdb4c
	s_mov_b32 s1, 0xbf83fda0
	v_add_f64 v[5:6], v[5:6], s[0:1]
	s_mov_b32 s0, 0xb55b1514
	s_mov_b32 s1, 0x3fe8ea18
	v_fma_f64 v[13:14], v[11:12], v[13:14], 1.0
	v_fma_f64 v[3:4], v[3:4], v[5:6], -v[7:8]
	v_fma_f64 v[5:6], v[11:12], v[13:14], 1.0
	v_add_f64 v[3:4], v[3:4], s[0:1]
	s_mov_b32 s0, 0
	s_mov_b32 s1, 0x40900000
	v_ldexp_f64 v[5:6], v[5:6], v9
	v_cmp_ngt_f64_e64 s[0:1], |v[1:2]|, s[0:1]
	v_mov_b32_e32 v9, 0x7ff00000
	v_add_f64 v[7:8], v[3:4], -v[7:8]
                                        ; implicit-def: $vgpr3_vgpr4
	v_cndmask_b32_e64 v6, v9, v6, s[0:1]
	v_cndmask_b32_e64 v5, 0, v5, s[0:1]
	s_and_saveexec_b64 s[0:1], vcc
	s_xor_b64 s[0:1], exec, s[0:1]
	s_cbranch_execz .LBB7_217
; %bb.216:
	s_mov_b32 s4, 0
	s_brev_b32 s5, 8
	v_cmp_lt_f64_e64 vcc, |v[1:2]|, s[4:5]
	v_mov_b32_e32 v3, 0x100
	v_mul_f64 v[7:8], v[7:8], 0.5
	v_cndmask_b32_e32 v3, 0, v3, vcc
	v_ldexp_f64 v[1:2], |v[1:2]|, v3
	v_mul_f64 v[5:6], v[5:6], v[7:8]
	v_rsq_f64_e32 v[3:4], v[1:2]
	v_mul_f64 v[9:10], v[1:2], v[3:4]
	v_mul_f64 v[3:4], v[3:4], 0.5
	v_fma_f64 v[11:12], -v[3:4], v[9:10], 0.5
	v_fma_f64 v[9:10], v[9:10], v[11:12], v[9:10]
	v_fma_f64 v[3:4], v[3:4], v[11:12], v[3:4]
	v_fma_f64 v[11:12], -v[9:10], v[9:10], v[1:2]
	v_fma_f64 v[9:10], v[11:12], v[3:4], v[9:10]
	v_fma_f64 v[11:12], -v[9:10], v[9:10], v[1:2]
	v_fma_f64 v[3:4], v[11:12], v[3:4], v[9:10]
	v_mov_b32_e32 v9, 0xffffff80
	v_mov_b32_e32 v10, 0x260
	v_cndmask_b32_e32 v9, 0, v9, vcc
	v_cmp_class_f64_e32 vcc, v[1:2], v10
	v_ldexp_f64 v[3:4], v[3:4], v9
	v_cndmask_b32_e32 v2, v4, v2, vcc
	v_cndmask_b32_e32 v1, v3, v1, vcc
	v_div_scale_f64 v[3:4], s[4:5], v[1:2], v[1:2], v[5:6]
	v_div_scale_f64 v[11:12], vcc, v[5:6], v[1:2], v[5:6]
	v_rcp_f64_e32 v[7:8], v[3:4]
	v_fma_f64 v[9:10], -v[3:4], v[7:8], 1.0
	v_fma_f64 v[7:8], v[7:8], v[9:10], v[7:8]
	v_fma_f64 v[9:10], -v[3:4], v[7:8], 1.0
	v_fma_f64 v[7:8], v[7:8], v[9:10], v[7:8]
	v_mul_f64 v[9:10], v[11:12], v[7:8]
	v_fma_f64 v[3:4], -v[3:4], v[9:10], v[11:12]
	v_div_fmas_f64 v[3:4], v[3:4], v[7:8], v[9:10]
                                        ; implicit-def: $vgpr7_vgpr8
	v_div_fixup_f64 v[3:4], v[3:4], v[1:2], v[5:6]
                                        ; implicit-def: $vgpr1_vgpr2
                                        ; implicit-def: $vgpr5_vgpr6
.LBB7_217:
	s_andn2_saveexec_b64 s[0:1], s[0:1]
	s_cbranch_execz .LBB7_219
; %bb.218:
	s_mov_b32 s4, 0
	s_brev_b32 s5, 8
	v_cmp_lt_f64_e64 vcc, |v[1:2]|, s[4:5]
	v_mov_b32_e32 v3, 0x100
	v_mul_f64 v[7:8], v[7:8], -0.5
	v_cndmask_b32_e32 v3, 0, v3, vcc
	v_ldexp_f64 v[1:2], |v[1:2]|, v3
	v_mul_f64 v[5:6], v[5:6], v[7:8]
	v_rsq_f64_e32 v[3:4], v[1:2]
	v_mul_f64 v[9:10], v[1:2], v[3:4]
	v_mul_f64 v[3:4], v[3:4], 0.5
	v_fma_f64 v[11:12], -v[3:4], v[9:10], 0.5
	v_fma_f64 v[9:10], v[9:10], v[11:12], v[9:10]
	v_fma_f64 v[3:4], v[3:4], v[11:12], v[3:4]
	v_fma_f64 v[11:12], -v[9:10], v[9:10], v[1:2]
	v_fma_f64 v[9:10], v[11:12], v[3:4], v[9:10]
	v_fma_f64 v[11:12], -v[9:10], v[9:10], v[1:2]
	v_fma_f64 v[3:4], v[11:12], v[3:4], v[9:10]
	v_mov_b32_e32 v9, 0xffffff80
	v_mov_b32_e32 v10, 0x260
	v_cndmask_b32_e32 v9, 0, v9, vcc
	v_cmp_class_f64_e32 vcc, v[1:2], v10
	v_ldexp_f64 v[3:4], v[3:4], v9
	v_cndmask_b32_e32 v2, v4, v2, vcc
	v_cndmask_b32_e32 v1, v3, v1, vcc
	v_div_scale_f64 v[3:4], s[4:5], v[1:2], v[1:2], v[5:6]
	v_div_scale_f64 v[11:12], vcc, v[5:6], v[1:2], v[5:6]
	v_rcp_f64_e32 v[7:8], v[3:4]
	v_fma_f64 v[9:10], -v[3:4], v[7:8], 1.0
	v_fma_f64 v[7:8], v[7:8], v[9:10], v[7:8]
	v_fma_f64 v[9:10], -v[3:4], v[7:8], 1.0
	v_fma_f64 v[7:8], v[7:8], v[9:10], v[7:8]
	v_mul_f64 v[9:10], v[11:12], v[7:8]
	v_fma_f64 v[3:4], -v[3:4], v[9:10], v[11:12]
	v_div_fmas_f64 v[3:4], v[3:4], v[7:8], v[9:10]
	v_div_fixup_f64 v[3:4], v[3:4], v[1:2], v[5:6]
.LBB7_219:
	s_or_b64 exec, exec, s[0:1]
.LBB7_220:
	s_or_b64 exec, exec, s[2:3]
	global_store_dwordx2 v0, v[3:4], s[16:17]
	s_or_b64 exec, exec, s[48:49]
                                        ; implicit-def: $vgpr12
                                        ; implicit-def: $vgpr9
	s_andn2_saveexec_b64 s[0:1], s[38:39]
	s_cbranch_execz .LBB7_173
	s_branch .LBB7_8
	.section	.rodata,"a",@progbits
	.p2align	6, 0x0
	.amdhsa_kernel _ZN2at6native32elementwise_kernel_manual_unrollILi128ELi4EZNS0_22gpu_kernel_impl_nocastIZZZNS0_12_GLOBAL__N_130modified_bessel_i1_kernel_cudaERNS_18TensorIteratorBaseEENKUlvE_clEvENKUlvE_clEvEUldE_EEvS5_RKT_EUlibE_EEviT1_
		.amdhsa_group_segment_fixed_size 0
		.amdhsa_private_segment_fixed_size 0
		.amdhsa_kernarg_size 360
		.amdhsa_user_sgpr_count 6
		.amdhsa_user_sgpr_private_segment_buffer 1
		.amdhsa_user_sgpr_dispatch_ptr 0
		.amdhsa_user_sgpr_queue_ptr 0
		.amdhsa_user_sgpr_kernarg_segment_ptr 1
		.amdhsa_user_sgpr_dispatch_id 0
		.amdhsa_user_sgpr_flat_scratch_init 0
		.amdhsa_user_sgpr_private_segment_size 0
		.amdhsa_uses_dynamic_stack 0
		.amdhsa_system_sgpr_private_segment_wavefront_offset 0
		.amdhsa_system_sgpr_workgroup_id_x 1
		.amdhsa_system_sgpr_workgroup_id_y 0
		.amdhsa_system_sgpr_workgroup_id_z 0
		.amdhsa_system_sgpr_workgroup_info 0
		.amdhsa_system_vgpr_workitem_id 0
		.amdhsa_next_free_vgpr 25
		.amdhsa_next_free_sgpr 60
		.amdhsa_reserve_vcc 1
		.amdhsa_reserve_flat_scratch 0
		.amdhsa_float_round_mode_32 0
		.amdhsa_float_round_mode_16_64 0
		.amdhsa_float_denorm_mode_32 3
		.amdhsa_float_denorm_mode_16_64 3
		.amdhsa_dx10_clamp 1
		.amdhsa_ieee_mode 1
		.amdhsa_fp16_overflow 0
		.amdhsa_exception_fp_ieee_invalid_op 0
		.amdhsa_exception_fp_denorm_src 0
		.amdhsa_exception_fp_ieee_div_zero 0
		.amdhsa_exception_fp_ieee_overflow 0
		.amdhsa_exception_fp_ieee_underflow 0
		.amdhsa_exception_fp_ieee_inexact 0
		.amdhsa_exception_int_div_zero 0
	.end_amdhsa_kernel
	.section	.text._ZN2at6native32elementwise_kernel_manual_unrollILi128ELi4EZNS0_22gpu_kernel_impl_nocastIZZZNS0_12_GLOBAL__N_130modified_bessel_i1_kernel_cudaERNS_18TensorIteratorBaseEENKUlvE_clEvENKUlvE_clEvEUldE_EEvS5_RKT_EUlibE_EEviT1_,"axG",@progbits,_ZN2at6native32elementwise_kernel_manual_unrollILi128ELi4EZNS0_22gpu_kernel_impl_nocastIZZZNS0_12_GLOBAL__N_130modified_bessel_i1_kernel_cudaERNS_18TensorIteratorBaseEENKUlvE_clEvENKUlvE_clEvEUldE_EEvS5_RKT_EUlibE_EEviT1_,comdat
.Lfunc_end7:
	.size	_ZN2at6native32elementwise_kernel_manual_unrollILi128ELi4EZNS0_22gpu_kernel_impl_nocastIZZZNS0_12_GLOBAL__N_130modified_bessel_i1_kernel_cudaERNS_18TensorIteratorBaseEENKUlvE_clEvENKUlvE_clEvEUldE_EEvS5_RKT_EUlibE_EEviT1_, .Lfunc_end7-_ZN2at6native32elementwise_kernel_manual_unrollILi128ELi4EZNS0_22gpu_kernel_impl_nocastIZZZNS0_12_GLOBAL__N_130modified_bessel_i1_kernel_cudaERNS_18TensorIteratorBaseEENKUlvE_clEvENKUlvE_clEvEUldE_EEvS5_RKT_EUlibE_EEviT1_
                                        ; -- End function
	.set _ZN2at6native32elementwise_kernel_manual_unrollILi128ELi4EZNS0_22gpu_kernel_impl_nocastIZZZNS0_12_GLOBAL__N_130modified_bessel_i1_kernel_cudaERNS_18TensorIteratorBaseEENKUlvE_clEvENKUlvE_clEvEUldE_EEvS5_RKT_EUlibE_EEviT1_.num_vgpr, 25
	.set _ZN2at6native32elementwise_kernel_manual_unrollILi128ELi4EZNS0_22gpu_kernel_impl_nocastIZZZNS0_12_GLOBAL__N_130modified_bessel_i1_kernel_cudaERNS_18TensorIteratorBaseEENKUlvE_clEvENKUlvE_clEvEUldE_EEvS5_RKT_EUlibE_EEviT1_.num_agpr, 0
	.set _ZN2at6native32elementwise_kernel_manual_unrollILi128ELi4EZNS0_22gpu_kernel_impl_nocastIZZZNS0_12_GLOBAL__N_130modified_bessel_i1_kernel_cudaERNS_18TensorIteratorBaseEENKUlvE_clEvENKUlvE_clEvEUldE_EEvS5_RKT_EUlibE_EEviT1_.numbered_sgpr, 60
	.set _ZN2at6native32elementwise_kernel_manual_unrollILi128ELi4EZNS0_22gpu_kernel_impl_nocastIZZZNS0_12_GLOBAL__N_130modified_bessel_i1_kernel_cudaERNS_18TensorIteratorBaseEENKUlvE_clEvENKUlvE_clEvEUldE_EEvS5_RKT_EUlibE_EEviT1_.num_named_barrier, 0
	.set _ZN2at6native32elementwise_kernel_manual_unrollILi128ELi4EZNS0_22gpu_kernel_impl_nocastIZZZNS0_12_GLOBAL__N_130modified_bessel_i1_kernel_cudaERNS_18TensorIteratorBaseEENKUlvE_clEvENKUlvE_clEvEUldE_EEvS5_RKT_EUlibE_EEviT1_.private_seg_size, 0
	.set _ZN2at6native32elementwise_kernel_manual_unrollILi128ELi4EZNS0_22gpu_kernel_impl_nocastIZZZNS0_12_GLOBAL__N_130modified_bessel_i1_kernel_cudaERNS_18TensorIteratorBaseEENKUlvE_clEvENKUlvE_clEvEUldE_EEvS5_RKT_EUlibE_EEviT1_.uses_vcc, 1
	.set _ZN2at6native32elementwise_kernel_manual_unrollILi128ELi4EZNS0_22gpu_kernel_impl_nocastIZZZNS0_12_GLOBAL__N_130modified_bessel_i1_kernel_cudaERNS_18TensorIteratorBaseEENKUlvE_clEvENKUlvE_clEvEUldE_EEvS5_RKT_EUlibE_EEviT1_.uses_flat_scratch, 0
	.set _ZN2at6native32elementwise_kernel_manual_unrollILi128ELi4EZNS0_22gpu_kernel_impl_nocastIZZZNS0_12_GLOBAL__N_130modified_bessel_i1_kernel_cudaERNS_18TensorIteratorBaseEENKUlvE_clEvENKUlvE_clEvEUldE_EEvS5_RKT_EUlibE_EEviT1_.has_dyn_sized_stack, 0
	.set _ZN2at6native32elementwise_kernel_manual_unrollILi128ELi4EZNS0_22gpu_kernel_impl_nocastIZZZNS0_12_GLOBAL__N_130modified_bessel_i1_kernel_cudaERNS_18TensorIteratorBaseEENKUlvE_clEvENKUlvE_clEvEUldE_EEvS5_RKT_EUlibE_EEviT1_.has_recursion, 0
	.set _ZN2at6native32elementwise_kernel_manual_unrollILi128ELi4EZNS0_22gpu_kernel_impl_nocastIZZZNS0_12_GLOBAL__N_130modified_bessel_i1_kernel_cudaERNS_18TensorIteratorBaseEENKUlvE_clEvENKUlvE_clEvEUldE_EEvS5_RKT_EUlibE_EEviT1_.has_indirect_call, 0
	.section	.AMDGPU.csdata,"",@progbits
; Kernel info:
; codeLenInByte = 31760
; TotalNumSgprs: 64
; NumVgprs: 25
; ScratchSize: 0
; MemoryBound: 0
; FloatMode: 240
; IeeeMode: 1
; LDSByteSize: 0 bytes/workgroup (compile time only)
; SGPRBlocks: 7
; VGPRBlocks: 6
; NumSGPRsForWavesPerEU: 64
; NumVGPRsForWavesPerEU: 25
; Occupancy: 9
; WaveLimiterHint : 1
; COMPUTE_PGM_RSRC2:SCRATCH_EN: 0
; COMPUTE_PGM_RSRC2:USER_SGPR: 6
; COMPUTE_PGM_RSRC2:TRAP_HANDLER: 0
; COMPUTE_PGM_RSRC2:TGID_X_EN: 1
; COMPUTE_PGM_RSRC2:TGID_Y_EN: 0
; COMPUTE_PGM_RSRC2:TGID_Z_EN: 0
; COMPUTE_PGM_RSRC2:TIDIG_COMP_CNT: 0
	.section	.text._ZN2at6native32elementwise_kernel_manual_unrollILi128ELi4EZNS0_15gpu_kernel_implIZZZNS0_12_GLOBAL__N_130modified_bessel_i1_kernel_cudaERNS_18TensorIteratorBaseEENKUlvE_clEvENKUlvE_clEvEUldE_EEvS5_RKT_EUlibE_EEviT1_,"axG",@progbits,_ZN2at6native32elementwise_kernel_manual_unrollILi128ELi4EZNS0_15gpu_kernel_implIZZZNS0_12_GLOBAL__N_130modified_bessel_i1_kernel_cudaERNS_18TensorIteratorBaseEENKUlvE_clEvENKUlvE_clEvEUldE_EEvS5_RKT_EUlibE_EEviT1_,comdat
	.globl	_ZN2at6native32elementwise_kernel_manual_unrollILi128ELi4EZNS0_15gpu_kernel_implIZZZNS0_12_GLOBAL__N_130modified_bessel_i1_kernel_cudaERNS_18TensorIteratorBaseEENKUlvE_clEvENKUlvE_clEvEUldE_EEvS5_RKT_EUlibE_EEviT1_ ; -- Begin function _ZN2at6native32elementwise_kernel_manual_unrollILi128ELi4EZNS0_15gpu_kernel_implIZZZNS0_12_GLOBAL__N_130modified_bessel_i1_kernel_cudaERNS_18TensorIteratorBaseEENKUlvE_clEvENKUlvE_clEvEUldE_EEvS5_RKT_EUlibE_EEviT1_
	.p2align	8
	.type	_ZN2at6native32elementwise_kernel_manual_unrollILi128ELi4EZNS0_15gpu_kernel_implIZZZNS0_12_GLOBAL__N_130modified_bessel_i1_kernel_cudaERNS_18TensorIteratorBaseEENKUlvE_clEvENKUlvE_clEvEUldE_EEvS5_RKT_EUlibE_EEviT1_,@function
_ZN2at6native32elementwise_kernel_manual_unrollILi128ELi4EZNS0_15gpu_kernel_implIZZZNS0_12_GLOBAL__N_130modified_bessel_i1_kernel_cudaERNS_18TensorIteratorBaseEENKUlvE_clEvENKUlvE_clEvEUldE_EEvS5_RKT_EUlibE_EEviT1_: ; @_ZN2at6native32elementwise_kernel_manual_unrollILi128ELi4EZNS0_15gpu_kernel_implIZZZNS0_12_GLOBAL__N_130modified_bessel_i1_kernel_cudaERNS_18TensorIteratorBaseEENKUlvE_clEvENKUlvE_clEvEUldE_EEvS5_RKT_EUlibE_EEviT1_
; %bb.0:
	v_mov_b32_e32 v1, 0
	global_load_ushort v1, v1, s[4:5] offset:33
	s_load_dwordx4 s[8:11], s[4:5], 0x8
	s_load_dwordx2 s[2:3], s[4:5], 0x18
	s_load_dword s38, s[4:5], 0x0
	v_lshl_or_b32 v14, s6, 9, v0
	v_or_b32_e32 v0, 0x180, v14
	s_mov_b64 s[12:13], 0
	s_mov_b64 s[6:7], 0
	s_waitcnt lgkmcnt(0)
	v_cmp_le_i32_e32 vcc, s38, v0
	s_waitcnt vmcnt(0)
	v_readfirstlane_b32 s33, v1
	s_and_b32 s0, 0xffff, s33
	s_lshr_b32 s42, s0, 8
	s_and_saveexec_b64 s[0:1], vcc
	s_xor_b64 s[4:5], exec, s[0:1]
	s_cbranch_execz .LBB8_1075
; %bb.1:
	v_cmp_gt_i32_e32 vcc, s38, v14
	s_mov_b64 s[18:19], -1
	s_mov_b64 s[20:21], 0
	s_mov_b64 s[14:15], 0
	s_and_saveexec_b64 s[16:17], vcc
	s_cbranch_execz .LBB8_264
; %bb.2:
	v_mul_lo_u32 v0, v14, s3
	v_mov_b32_e32 v1, s11
	s_and_b32 s22, 0xffff, s42
	s_cmp_lt_i32 s22, 11
	v_ashrrev_i32_e32 v2, 31, v0
	v_add_co_u32_e32 v0, vcc, s10, v0
	v_addc_co_u32_e32 v1, vcc, v1, v2, vcc
	s_cbranch_scc1 .LBB8_9
; %bb.3:
	s_cmp_gt_i32 s22, 25
	s_cbranch_scc0 .LBB8_30
; %bb.4:
	s_cmp_gt_i32 s22, 28
	s_cbranch_scc0 .LBB8_34
	;; [unrolled: 3-line block ×4, first 2 shown]
; %bb.7:
	s_cmp_eq_u32 s22, 46
	s_cbranch_scc0 .LBB8_40
; %bb.8:
	global_load_dword v2, v[0:1], off
	s_mov_b64 s[0:1], -1
	s_waitcnt vmcnt(0)
	v_lshlrev_b32_e32 v2, 16, v2
	v_cvt_f64_f32_e32 v[2:3], v2
	s_branch .LBB8_42
.LBB8_9:
                                        ; implicit-def: $vgpr2_vgpr3
	s_mov_b64 s[0:1], 0
	s_cbranch_execnz .LBB8_215
.LBB8_10:
	s_andn2_b64 vcc, exec, s[0:1]
	s_cbranch_vccnz .LBB8_262
.LBB8_11:
	s_mov_b32 s0, 0
	s_mov_b32 s1, 0x40200000
	s_waitcnt vmcnt(0)
	v_cmp_le_f64_e64 s[0:1], |v[2:3]|, s[0:1]
                                        ; implicit-def: $vgpr0_vgpr1
	s_and_saveexec_b64 s[6:7], s[0:1]
	s_xor_b64 s[0:1], exec, s[6:7]
	s_cbranch_execz .LBB8_17
; %bb.12:
	v_fma_f64 v[0:1], |v[2:3]|, 0.5, -2.0
	v_mov_b32_e32 v4, 0xc38a0576
	v_mov_b32_e32 v5, 0xbc7857d0
	s_mov_b32 s7, 0x3c499f2a
	s_mov_b32 s6, 0xc3c4014
	;; [unrolled: 1-line block ×4, first 2 shown]
	v_mov_b32_e32 v12, 0xfca7ab0c
	v_fma_f64 v[4:5], v[0:1], s[6:7], v[4:5]
	s_mov_b32 s7, 0xbc499f2a
	v_mov_b32_e32 v13, 0x3e928af3
	v_cmp_ngt_f64_e32 vcc, 0, v[2:3]
	v_fma_f64 v[6:7], v[0:1], v[4:5], s[6:7]
	s_mov_b32 s6, 0xe593bfac
	s_mov_b32 s7, 0x3ca663e3
	v_add_f64 v[6:7], v[6:7], s[6:7]
	s_mov_b32 s6, 0x7e0d1573
	s_mov_b32 s7, 0xbcd3eaaa
	v_fma_f64 v[4:5], v[0:1], v[6:7], -v[4:5]
	v_add_f64 v[4:5], v[4:5], s[6:7]
	s_mov_b32 s6, 0x615290c
	s_mov_b32 s7, 0x3d011d7f
	v_fma_f64 v[6:7], v[0:1], v[4:5], -v[6:7]
	;; [unrolled: 4-line block ×20, first 2 shown]
	v_add_f64 v[6:7], v[6:7], s[6:7]
	s_mov_b32 s6, 0x652b82fe
	s_mov_b32 s7, 0x3ff71547
	v_mul_f64 v[8:9], |v[2:3]|, s[6:7]
	s_mov_b32 s6, 0x7913a26a
	s_mov_b32 s7, 0xbf85a29f
	v_fma_f64 v[4:5], v[0:1], v[6:7], -v[4:5]
	v_rndne_f64_e32 v[8:9], v[8:9]
	v_add_f64 v[4:5], v[4:5], s[6:7]
	s_mov_b32 s6, 0xfefa39ef
	s_mov_b32 s7, 0xbfe62e42
	v_fma_f64 v[10:11], v[8:9], s[6:7], |v[2:3]|
	s_mov_b32 s6, 0xe7bb2349
	s_mov_b32 s7, 0x3f9951e3
	v_fma_f64 v[6:7], v[0:1], v[4:5], -v[6:7]
	v_fma_f64 v[10:11], v[8:9], s[18:19], v[10:11]
	s_mov_b32 s18, 0x623fde64
	s_mov_b32 s19, 0x3ec71dee
	v_cvt_i32_f64_e32 v8, v[8:9]
	v_add_f64 v[6:7], v[6:7], s[6:7]
	s_mov_b32 s6, 0x6a5dcb37
	s_mov_b32 s7, 0x3e5ade15
	v_fma_f64 v[12:13], v[10:11], s[6:7], v[12:13]
	s_mov_b32 s6, 0x537c9ebc
	s_mov_b32 s7, 0xbfab1bbc
	v_fma_f64 v[4:5], v[0:1], v[6:7], -v[4:5]
	v_fma_f64 v[12:13], v[10:11], v[12:13], s[18:19]
	s_mov_b32 s18, 0x14761f6e
	s_mov_b32 s19, 0x3f2a01a0
	v_add_f64 v[4:5], v[4:5], s[6:7]
	s_mov_b32 s6, 0x7c89e6b0
	s_mov_b32 s7, 0x3efa0199
	v_fma_f64 v[12:13], v[10:11], v[12:13], s[6:7]
	s_mov_b32 s6, 0xd536f53c
	s_mov_b32 s7, 0x3fba46da
	v_fma_f64 v[6:7], v[0:1], v[4:5], -v[6:7]
	v_fma_f64 v[12:13], v[10:11], v[12:13], s[18:19]
	s_mov_b32 s18, 0x11122322
	s_mov_b32 s19, 0x3f811111
	;; [unrolled: 10-line block ×3, first 2 shown]
	v_add_f64 v[4:5], v[4:5], s[6:7]
	s_mov_b32 s6, 0x555502a1
	s_mov_b32 s7, 0x3fa55555
	v_fma_f64 v[0:1], v[0:1], v[4:5], -v[6:7]
	v_fma_f64 v[4:5], v[10:11], v[12:13], s[6:7]
	s_mov_b32 s6, 0x724a7ffa
	s_mov_b32 s7, 0x3fd02a63
	v_add_f64 v[0:1], v[0:1], s[6:7]
	v_fma_f64 v[4:5], v[10:11], v[4:5], s[18:19]
	s_mov_b32 s6, 11
	s_mov_b32 s7, 0x3fe00000
	v_add_f64 v[0:1], v[0:1], -v[6:7]
	v_fma_f64 v[4:5], v[10:11], v[4:5], s[6:7]
	v_mul_f64 v[0:1], v[0:1], 0.5
	v_fma_f64 v[6:7], v[10:11], v[4:5], 1.0
	v_mul_f64 v[4:5], |v[2:3]|, v[0:1]
	v_fma_f64 v[6:7], v[10:11], v[6:7], 1.0
                                        ; implicit-def: $vgpr0_vgpr1
	s_and_saveexec_b64 s[6:7], vcc
	s_xor_b64 s[6:7], exec, s[6:7]
	s_cbranch_execz .LBB8_14
; %bb.13:
	s_mov_b32 s18, 0
	s_mov_b32 s19, 0x40900000
	v_ldexp_f64 v[0:1], v[6:7], v8
	v_cmp_ngt_f64_e64 vcc, |v[2:3]|, s[18:19]
	v_mov_b32_e32 v6, 0x7ff00000
                                        ; implicit-def: $vgpr8
                                        ; implicit-def: $vgpr2_vgpr3
	v_cndmask_b32_e32 v1, v6, v1, vcc
	v_cndmask_b32_e32 v0, 0, v0, vcc
	v_mul_f64 v[0:1], v[0:1], v[4:5]
                                        ; implicit-def: $vgpr6_vgpr7
                                        ; implicit-def: $vgpr4_vgpr5
.LBB8_14:
	s_andn2_saveexec_b64 s[6:7], s[6:7]
	s_cbranch_execz .LBB8_16
; %bb.15:
	s_mov_b32 s18, 0
	s_mov_b32 s19, 0x40900000
	v_ldexp_f64 v[0:1], -v[6:7], v8
	v_cmp_ngt_f64_e64 vcc, |v[2:3]|, s[18:19]
	v_mov_b32_e32 v6, 0xfff00000
	v_cndmask_b32_e32 v1, v6, v1, vcc
	v_cndmask_b32_e32 v0, 0, v0, vcc
	v_mul_f64 v[0:1], v[0:1], v[4:5]
.LBB8_16:
	s_or_b64 exec, exec, s[6:7]
                                        ; implicit-def: $vgpr2_vgpr3
.LBB8_17:
	s_andn2_saveexec_b64 s[6:7], s[0:1]
	s_cbranch_execz .LBB8_23
; %bb.18:
	s_mov_b32 s0, 0
	v_and_b32_e32 v1, 0x7fffffff, v3
	v_mov_b32_e32 v0, v2
	s_mov_b32 s1, 0x40400000
	v_div_scale_f64 v[4:5], s[18:19], v[0:1], v[0:1], s[0:1]
	v_div_scale_f64 v[0:1], vcc, s[0:1], v[0:1], s[0:1]
	v_mov_b32_e32 v12, 0xfca7ab0c
	v_mov_b32_e32 v13, 0x3e928af3
	v_rcp_f64_e32 v[6:7], v[4:5]
	v_fma_f64 v[8:9], -v[4:5], v[6:7], 1.0
	v_fma_f64 v[6:7], v[6:7], v[8:9], v[6:7]
	v_fma_f64 v[8:9], -v[4:5], v[6:7], 1.0
	v_fma_f64 v[6:7], v[6:7], v[8:9], v[6:7]
	v_mul_f64 v[8:9], v[0:1], v[6:7]
	v_fma_f64 v[0:1], -v[4:5], v[8:9], v[0:1]
	v_mov_b32_e32 v4, 0xea87b950
	v_mov_b32_e32 v5, 0x3c545b8a
	v_div_fmas_f64 v[0:1], v[0:1], v[6:7], v[8:9]
	v_cmp_ngt_f64_e32 vcc, 0, v[2:3]
	v_div_fixup_f64 v[0:1], v[0:1], |v[2:3]|, s[0:1]
	s_mov_b32 s1, 0x3c61556d
	s_mov_b32 s0, 0xb352e8e6
	v_add_f64 v[0:1], v[0:1], -2.0
	v_fma_f64 v[4:5], v[0:1], s[0:1], v[4:5]
	s_mov_b32 s1, 0xbc61556d
	v_fma_f64 v[6:7], v[0:1], v[4:5], s[0:1]
	s_mov_b32 s0, 0xb2532277
	s_mov_b32 s1, 0xbc8acea3
	v_add_f64 v[6:7], v[6:7], s[0:1]
	s_mov_b32 s0, 0x9c773320
	s_mov_b32 s1, 0xbc82806c
	v_fma_f64 v[4:5], v[0:1], v[6:7], -v[4:5]
	v_add_f64 v[4:5], v[4:5], s[0:1]
	s_mov_b32 s0, 0xfceb588a
	s_mov_b32 s1, 0x3cb55915
	v_fma_f64 v[6:7], v[0:1], v[4:5], -v[6:7]
	v_add_f64 v[6:7], v[6:7], s[0:1]
	s_mov_b32 s0, 0x5f04a2d1
	s_mov_b32 s1, 0x3cb7d68e
	v_fma_f64 v[4:5], v[0:1], v[6:7], -v[4:5]
	v_add_f64 v[4:5], v[4:5], s[0:1]
	s_mov_b32 s0, 0x8bc4d22a
	s_mov_b32 s1, 0xbce0efcd
	v_fma_f64 v[6:7], v[0:1], v[4:5], -v[6:7]
	v_add_f64 v[6:7], v[6:7], s[0:1]
	s_mov_b32 s0, 0x138afbc7
	s_mov_b32 s1, 0xbcf12db5
	v_fma_f64 v[4:5], v[0:1], v[6:7], -v[4:5]
	v_add_f64 v[4:5], v[4:5], s[0:1]
	s_mov_b32 s0, 0x762d31e8
	s_mov_b32 s1, 0x3d0776e1
	v_fma_f64 v[6:7], v[0:1], v[4:5], -v[6:7]
	v_add_f64 v[6:7], v[6:7], s[0:1]
	s_mov_b32 s0, 0x26b3281e
	s_mov_b32 s1, 0x3d280d3c
	v_fma_f64 v[4:5], v[0:1], v[6:7], -v[4:5]
	v_add_f64 v[4:5], v[4:5], s[0:1]
	s_mov_b32 s0, 0x2e6d22a0
	s_mov_b32 s1, 0xbd17a948
	v_fma_f64 v[6:7], v[0:1], v[4:5], -v[6:7]
	v_add_f64 v[6:7], v[6:7], s[0:1]
	s_mov_b32 s0, 0x8e73e255
	s_mov_b32 s1, 0xbd5cbc45
	v_fma_f64 v[4:5], v[0:1], v[6:7], -v[4:5]
	v_add_f64 v[4:5], v[4:5], s[0:1]
	s_mov_b32 s0, 0x76ab493
	s_mov_b32 s1, 0xbd6953e1
	v_fma_f64 v[6:7], v[0:1], v[4:5], -v[6:7]
	v_add_f64 v[6:7], v[6:7], s[0:1]
	s_mov_b32 s0, 0xf6439fa3
	s_mov_b32 s1, 0x3d81e7d3
	v_fma_f64 v[4:5], v[0:1], v[6:7], -v[4:5]
	v_add_f64 v[4:5], v[4:5], s[0:1]
	s_mov_b32 s0, 0x653c457b
	s_mov_b32 s1, 0x3daf101f
	v_fma_f64 v[6:7], v[0:1], v[4:5], -v[6:7]
	v_add_f64 v[6:7], v[6:7], s[0:1]
	s_mov_b32 s0, 0xf1587865
	s_mov_b32 s1, 0x3dc1e1a1
	v_fma_f64 v[4:5], v[0:1], v[6:7], -v[4:5]
	v_add_f64 v[4:5], v[4:5], s[0:1]
	s_mov_b32 s0, 0xd4504c0c
	s_mov_b32 s1, 0xbdb4dcf9
	v_fma_f64 v[6:7], v[0:1], v[4:5], -v[6:7]
	v_add_f64 v[6:7], v[6:7], s[0:1]
	s_mov_b32 s0, 0x652b82fe
	s_mov_b32 s1, 0x3ff71547
	v_mul_f64 v[8:9], |v[2:3]|, s[0:1]
	s_mov_b32 s0, 0x5423dd80
	s_mov_b32 s1, 0xbe0334ca
	v_fma_f64 v[4:5], v[0:1], v[6:7], -v[4:5]
	v_rndne_f64_e32 v[8:9], v[8:9]
	v_add_f64 v[4:5], v[4:5], s[0:1]
	s_mov_b32 s0, 0xfefa39ef
	s_mov_b32 s1, 0xbfe62e42
	v_fma_f64 v[10:11], v[8:9], s[0:1], |v[2:3]|
	s_mov_b32 s0, 0x9ad53528
	s_mov_b32 s1, 0xbe30790b
	v_fma_f64 v[6:7], v[0:1], v[4:5], -v[6:7]
	v_add_f64 v[6:7], v[6:7], s[0:1]
	s_mov_b32 s0, 0x3b39803f
	s_mov_b32 s1, 0xbc7abc9e
	v_fma_f64 v[10:11], v[8:9], s[0:1], v[10:11]
	s_mov_b32 s0, 0x6a5dcb37
	s_mov_b32 s1, 0x3e5ade15
	v_cvt_i32_f64_e32 v8, v[8:9]
	v_fma_f64 v[4:5], v[0:1], v[6:7], -v[4:5]
	v_fma_f64 v[12:13], v[10:11], s[0:1], v[12:13]
	s_mov_b32 s0, 0x94bb46c1
	s_mov_b32 s1, 0xbe5c4153
	v_add_f64 v[4:5], v[4:5], s[0:1]
	s_mov_b32 s0, 0x623fde64
	s_mov_b32 s1, 0x3ec71dee
	v_fma_f64 v[12:13], v[10:11], v[12:13], s[0:1]
	s_mov_b32 s0, 0x7c89e6b0
	s_mov_b32 s1, 0x3efa0199
	v_fma_f64 v[6:7], v[0:1], v[4:5], -v[6:7]
	v_fma_f64 v[12:13], v[10:11], v[12:13], s[0:1]
	s_mov_b32 s0, 0x2e9e5443
	s_mov_b32 s1, 0xbe90dbfd
	v_add_f64 v[6:7], v[6:7], s[0:1]
	s_mov_b32 s0, 0x14761f6e
	s_mov_b32 s1, 0x3f2a01a0
	v_fma_f64 v[12:13], v[10:11], v[12:13], s[0:1]
	s_mov_b32 s0, 0x1852b7b0
	s_mov_b32 s1, 0x3f56c16c
	;; [unrolled: 10-line block ×4, first 2 shown]
	v_fma_f64 v[4:5], v[0:1], v[6:7], -v[4:5]
	v_fma_f64 v[12:13], v[10:11], v[12:13], s[0:1]
	s_mov_b32 s0, 0x53fcdb4c
	s_mov_b32 s1, 0xbf83fda0
	v_add_f64 v[4:5], v[4:5], s[0:1]
	s_mov_b32 s0, 0xb55b1514
	s_mov_b32 s1, 0x3fe8ea18
	v_fma_f64 v[12:13], v[10:11], v[12:13], 1.0
	v_fma_f64 v[0:1], v[0:1], v[4:5], -v[6:7]
	v_fma_f64 v[4:5], v[10:11], v[12:13], 1.0
	v_add_f64 v[0:1], v[0:1], s[0:1]
	s_mov_b32 s0, 0
	s_mov_b32 s1, 0x40900000
	v_ldexp_f64 v[4:5], v[4:5], v8
	v_cmp_ngt_f64_e64 s[0:1], |v[2:3]|, s[0:1]
	v_mov_b32_e32 v8, 0x7ff00000
	v_add_f64 v[6:7], v[0:1], -v[6:7]
                                        ; implicit-def: $vgpr0_vgpr1
	v_cndmask_b32_e64 v5, v8, v5, s[0:1]
	v_cndmask_b32_e64 v4, 0, v4, s[0:1]
	s_and_saveexec_b64 s[0:1], vcc
	s_xor_b64 s[0:1], exec, s[0:1]
	s_cbranch_execz .LBB8_20
; %bb.19:
	s_mov_b32 s18, 0
	s_brev_b32 s19, 8
	v_cmp_lt_f64_e64 vcc, |v[2:3]|, s[18:19]
	v_mov_b32_e32 v0, 0x100
	v_mul_f64 v[6:7], v[6:7], 0.5
	v_cndmask_b32_e32 v0, 0, v0, vcc
	v_ldexp_f64 v[0:1], |v[2:3]|, v0
	v_mul_f64 v[4:5], v[4:5], v[6:7]
	v_rsq_f64_e32 v[2:3], v[0:1]
	v_mul_f64 v[8:9], v[0:1], v[2:3]
	v_mul_f64 v[2:3], v[2:3], 0.5
	v_fma_f64 v[10:11], -v[2:3], v[8:9], 0.5
	v_fma_f64 v[8:9], v[8:9], v[10:11], v[8:9]
	v_fma_f64 v[2:3], v[2:3], v[10:11], v[2:3]
	v_fma_f64 v[10:11], -v[8:9], v[8:9], v[0:1]
	v_fma_f64 v[8:9], v[10:11], v[2:3], v[8:9]
	v_fma_f64 v[10:11], -v[8:9], v[8:9], v[0:1]
	v_fma_f64 v[2:3], v[10:11], v[2:3], v[8:9]
	v_mov_b32_e32 v8, 0xffffff80
	v_mov_b32_e32 v9, 0x260
	v_cndmask_b32_e32 v8, 0, v8, vcc
	v_cmp_class_f64_e32 vcc, v[0:1], v9
	v_ldexp_f64 v[2:3], v[2:3], v8
	v_cndmask_b32_e32 v1, v3, v1, vcc
	v_cndmask_b32_e32 v0, v2, v0, vcc
	v_div_scale_f64 v[2:3], s[18:19], v[0:1], v[0:1], v[4:5]
	v_div_scale_f64 v[10:11], vcc, v[4:5], v[0:1], v[4:5]
	v_rcp_f64_e32 v[6:7], v[2:3]
	v_fma_f64 v[8:9], -v[2:3], v[6:7], 1.0
	v_fma_f64 v[6:7], v[6:7], v[8:9], v[6:7]
	v_fma_f64 v[8:9], -v[2:3], v[6:7], 1.0
	v_fma_f64 v[6:7], v[6:7], v[8:9], v[6:7]
	v_mul_f64 v[8:9], v[10:11], v[6:7]
	v_fma_f64 v[2:3], -v[2:3], v[8:9], v[10:11]
	v_div_fmas_f64 v[2:3], v[2:3], v[6:7], v[8:9]
                                        ; implicit-def: $vgpr6_vgpr7
	v_div_fixup_f64 v[0:1], v[2:3], v[0:1], v[4:5]
                                        ; implicit-def: $vgpr2_vgpr3
                                        ; implicit-def: $vgpr4_vgpr5
.LBB8_20:
	s_andn2_saveexec_b64 s[0:1], s[0:1]
	s_cbranch_execz .LBB8_22
; %bb.21:
	s_mov_b32 s18, 0
	s_brev_b32 s19, 8
	v_cmp_lt_f64_e64 vcc, |v[2:3]|, s[18:19]
	v_mov_b32_e32 v0, 0x100
	v_mul_f64 v[6:7], v[6:7], -0.5
	v_cndmask_b32_e32 v0, 0, v0, vcc
	v_ldexp_f64 v[0:1], |v[2:3]|, v0
	v_mul_f64 v[4:5], v[4:5], v[6:7]
	v_rsq_f64_e32 v[2:3], v[0:1]
	v_mul_f64 v[8:9], v[0:1], v[2:3]
	v_mul_f64 v[2:3], v[2:3], 0.5
	v_fma_f64 v[10:11], -v[2:3], v[8:9], 0.5
	v_fma_f64 v[8:9], v[8:9], v[10:11], v[8:9]
	v_fma_f64 v[2:3], v[2:3], v[10:11], v[2:3]
	v_fma_f64 v[10:11], -v[8:9], v[8:9], v[0:1]
	v_fma_f64 v[8:9], v[10:11], v[2:3], v[8:9]
	v_fma_f64 v[10:11], -v[8:9], v[8:9], v[0:1]
	v_fma_f64 v[2:3], v[10:11], v[2:3], v[8:9]
	v_mov_b32_e32 v8, 0xffffff80
	v_mov_b32_e32 v9, 0x260
	v_cndmask_b32_e32 v8, 0, v8, vcc
	v_cmp_class_f64_e32 vcc, v[0:1], v9
	v_ldexp_f64 v[2:3], v[2:3], v8
	v_cndmask_b32_e32 v1, v3, v1, vcc
	v_cndmask_b32_e32 v0, v2, v0, vcc
	v_div_scale_f64 v[2:3], s[18:19], v[0:1], v[0:1], v[4:5]
	v_div_scale_f64 v[10:11], vcc, v[4:5], v[0:1], v[4:5]
	v_rcp_f64_e32 v[6:7], v[2:3]
	v_fma_f64 v[8:9], -v[2:3], v[6:7], 1.0
	v_fma_f64 v[6:7], v[6:7], v[8:9], v[6:7]
	v_fma_f64 v[8:9], -v[2:3], v[6:7], 1.0
	v_fma_f64 v[6:7], v[6:7], v[8:9], v[6:7]
	v_mul_f64 v[8:9], v[10:11], v[6:7]
	v_fma_f64 v[2:3], -v[2:3], v[8:9], v[10:11]
	v_div_fmas_f64 v[2:3], v[2:3], v[6:7], v[8:9]
	v_div_fixup_f64 v[0:1], v[2:3], v[0:1], v[4:5]
.LBB8_22:
	s_or_b64 exec, exec, s[0:1]
.LBB8_23:
	s_or_b64 exec, exec, s[6:7]
	v_mul_lo_u32 v2, v14, s2
	v_mov_b32_e32 v3, s9
	s_and_b32 s24, s33, 0xff
	s_cmp_lt_i32 s24, 11
	v_ashrrev_i32_e32 v5, 31, v2
	v_add_co_u32_e32 v4, vcc, s8, v2
	v_addc_co_u32_e32 v5, vcc, v3, v5, vcc
	s_cbranch_scc1 .LBB8_31
; %bb.24:
	s_and_b32 s25, 0xffff, s24
	s_cmp_gt_i32 s25, 25
	s_cbranch_scc0 .LBB8_35
; %bb.25:
	s_cmp_gt_i32 s25, 28
	s_cbranch_scc0 .LBB8_37
; %bb.26:
	;; [unrolled: 3-line block ×4, first 2 shown]
	s_mov_b64 s[18:19], 0
	s_mov_b64 s[0:1], -1
	s_cmp_eq_u32 s25, 46
	s_mov_b64 s[6:7], 0
	s_cbranch_scc0 .LBB8_46
; %bb.29:
	v_cvt_f32_f64_e32 v2, v[0:1]
	s_movk_i32 s0, 0x7fff
	v_mov_b32_e32 v3, 0x7fc0
	s_mov_b64 s[6:7], -1
	v_bfe_u32 v6, v2, 16, 1
	v_cmp_o_f32_e32 vcc, v2, v2
	v_add3_u32 v2, v2, v6, s0
	v_cndmask_b32_sdwa v2, v3, v2, vcc dst_sel:DWORD dst_unused:UNUSED_PAD src0_sel:DWORD src1_sel:WORD_1
	global_store_dword v[4:5], v2, off
	s_mov_b64 s[0:1], 0
	s_branch .LBB8_46
.LBB8_30:
	s_mov_b64 s[0:1], 0
                                        ; implicit-def: $vgpr2_vgpr3
	s_cbranch_execnz .LBB8_182
	s_branch .LBB8_214
.LBB8_31:
	s_mov_b64 s[0:1], 0
	s_mov_b64 s[6:7], 0
	s_cbranch_execnz .LBB8_115
.LBB8_32:
	s_andn2_b64 vcc, exec, s[6:7]
	s_cbranch_vccnz .LBB8_153
.LBB8_33:
	v_add_u32_e32 v14, 0x80, v14
	s_mov_b64 s[18:19], -1
	s_branch .LBB8_263
.LBB8_34:
	s_mov_b64 s[6:7], -1
	s_mov_b64 s[0:1], 0
                                        ; implicit-def: $vgpr2_vgpr3
	s_branch .LBB8_161
.LBB8_35:
	s_mov_b64 s[18:19], -1
	s_mov_b64 s[0:1], 0
	s_mov_b64 s[6:7], 0
	s_branch .LBB8_73
.LBB8_36:
	s_mov_b64 s[6:7], -1
	s_mov_b64 s[0:1], 0
                                        ; implicit-def: $vgpr2_vgpr3
	s_branch .LBB8_156
.LBB8_37:
	s_mov_b64 s[18:19], -1
	s_mov_b64 s[0:1], 0
	s_mov_b64 s[6:7], 0
	s_branch .LBB8_56
.LBB8_38:
	s_mov_b64 s[6:7], -1
	s_branch .LBB8_41
.LBB8_39:
	s_mov_b64 s[18:19], -1
	s_mov_b64 s[0:1], 0
	s_mov_b64 s[6:7], 0
	s_branch .LBB8_52
.LBB8_40:
	s_mov_b64 s[14:15], -1
.LBB8_41:
	s_mov_b64 s[0:1], 0
                                        ; implicit-def: $vgpr2_vgpr3
.LBB8_42:
	s_and_b64 vcc, exec, s[6:7]
	s_cbranch_vccz .LBB8_155
; %bb.43:
	s_cmp_eq_u32 s22, 44
	s_cbranch_scc0 .LBB8_154
; %bb.44:
	global_load_ubyte v4, v[0:1], off
	s_movk_i32 s6, 0xff
	v_bfrev_b32_e32 v5, 4
	v_mov_b32_e32 v6, 0x7ff80000
	v_bfrev_b32_e32 v7, 28
	s_mov_b64 s[0:1], -1
	s_mov_b64 s[14:15], 0
	s_waitcnt vmcnt(0)
	v_lshlrev_b32_e32 v2, 23, v4
	v_cvt_f64_f32_e32 v[2:3], v2
	v_cmp_ne_u32_e32 vcc, s6, v4
	v_cndmask_b32_e32 v2, v5, v2, vcc
	v_cndmask_b32_e32 v3, v6, v3, vcc
	v_cmp_ne_u32_e32 vcc, 0, v4
	v_cndmask_b32_e32 v3, v7, v3, vcc
	v_cndmask_b32_e32 v2, 0, v2, vcc
	s_branch .LBB8_155
.LBB8_45:
	s_mov_b64 s[18:19], -1
	s_mov_b64 s[0:1], 0
	s_mov_b64 s[6:7], 0
.LBB8_46:
	s_and_b64 vcc, exec, s[18:19]
	s_cbranch_vccz .LBB8_51
; %bb.47:
	s_cmp_eq_u32 s25, 44
	s_mov_b64 s[0:1], -1
	s_cbranch_scc0 .LBB8_51
; %bb.48:
	v_cvt_f32_f64_e32 v2, v[0:1]
	s_movk_i32 s0, 0xff
	v_mov_b32_e32 v6, 0xff
	v_bfe_u32 v3, v2, 23, 8
	v_cmp_ne_u32_e32 vcc, s0, v3
	s_and_saveexec_b64 s[6:7], vcc
; %bb.49:
	s_mov_b32 s0, 0x3fffff
	v_lshrrev_b32_e32 v6, 23, v2
	v_and_b32_e32 v7, 0x400000, v2
	v_and_or_b32 v2, v2, s0, v3
	v_cmp_ne_u32_e32 vcc, 0, v7
	v_cmp_ne_u32_e64 s[0:1], 0, v2
	s_and_b64 s[0:1], vcc, s[0:1]
	v_cndmask_b32_e64 v2, 0, 1, s[0:1]
	v_add_u32_e32 v6, v6, v2
; %bb.50:
	s_or_b64 exec, exec, s[6:7]
	s_mov_b64 s[6:7], -1
	s_mov_b64 s[0:1], 0
	global_store_byte v[4:5], v6, off
.LBB8_51:
	s_mov_b64 s[18:19], 0
.LBB8_52:
	s_and_b64 vcc, exec, s[18:19]
	s_cbranch_vccz .LBB8_55
; %bb.53:
	s_cmp_eq_u32 s25, 29
	s_mov_b64 s[0:1], -1
	s_cbranch_scc0 .LBB8_55
; %bb.54:
	v_trunc_f64_e32 v[2:3], v[0:1]
	s_movk_i32 s0, 0xffe0
	s_mov_b64 s[6:7], -1
	s_mov_b64 s[18:19], 0
	v_ldexp_f64 v[6:7], v[2:3], s0
	s_mov_b32 s0, 0
	s_mov_b32 s1, 0xc1f00000
	v_floor_f64_e32 v[6:7], v[6:7]
	v_fma_f64 v[2:3], v[6:7], s[0:1], v[2:3]
	v_cvt_u32_f64_e32 v7, v[6:7]
	s_mov_b64 s[0:1], 0
	v_cvt_u32_f64_e32 v6, v[2:3]
	global_store_dwordx2 v[4:5], v[6:7], off
	s_branch .LBB8_56
.LBB8_55:
	s_mov_b64 s[18:19], 0
.LBB8_56:
	s_and_b64 vcc, exec, s[18:19]
	s_cbranch_vccz .LBB8_72
; %bb.57:
	s_cmp_lt_i32 s25, 27
	s_mov_b64 s[6:7], -1
	s_cbranch_scc1 .LBB8_63
; %bb.58:
	v_cvt_u32_f64_e32 v2, v[0:1]
	s_cmp_gt_i32 s25, 27
	s_cbranch_scc0 .LBB8_60
; %bb.59:
	s_mov_b64 s[6:7], 0
	global_store_dword v[4:5], v2, off
.LBB8_60:
	s_andn2_b64 vcc, exec, s[6:7]
	s_cbranch_vccnz .LBB8_62
; %bb.61:
	global_store_short v[4:5], v2, off
.LBB8_62:
	s_mov_b64 s[6:7], 0
.LBB8_63:
	s_andn2_b64 vcc, exec, s[6:7]
	s_cbranch_vccnz .LBB8_71
; %bb.64:
	v_cvt_f32_f64_e32 v2, v[0:1]
	s_mov_b32 s6, 0x43800000
	v_mov_b32_e32 v6, 0x80
	v_and_b32_e32 v3, 0x7fffffff, v2
	v_cmp_gt_u32_e32 vcc, s6, v3
	s_and_saveexec_b64 s[6:7], vcc
	s_cbranch_execz .LBB8_70
; %bb.65:
	s_mov_b32 s18, 0x3bffffff
	v_cmp_lt_u32_e32 vcc, s18, v3
	s_mov_b64 s[18:19], 0
                                        ; implicit-def: $vgpr3
	s_and_saveexec_b64 s[22:23], vcc
	s_xor_b64 s[22:23], exec, s[22:23]
	s_cbranch_execz .LBB8_303
; %bb.66:
	v_bfe_u32 v3, v2, 20, 1
	s_mov_b32 s26, 0x487ffff
	v_add3_u32 v3, v2, v3, s26
	s_mov_b64 s[18:19], exec
	v_lshrrev_b32_e32 v3, 20, v3
	s_andn2_saveexec_b64 s[22:23], s[22:23]
	s_cbranch_execnz .LBB8_304
.LBB8_67:
	s_or_b64 exec, exec, s[22:23]
	v_mov_b32_e32 v6, 0
	s_and_saveexec_b64 s[22:23], s[18:19]
.LBB8_68:
	v_lshrrev_b32_e32 v2, 24, v2
	s_movk_i32 s18, 0x80
	v_and_or_b32 v6, v2, s18, v3
.LBB8_69:
	s_or_b64 exec, exec, s[22:23]
.LBB8_70:
	s_or_b64 exec, exec, s[6:7]
	global_store_byte v[4:5], v6, off
.LBB8_71:
	s_mov_b64 s[6:7], -1
.LBB8_72:
	s_mov_b64 s[18:19], 0
.LBB8_73:
	s_and_b64 vcc, exec, s[18:19]
	s_cbranch_vccz .LBB8_114
; %bb.74:
	s_cmp_gt_i32 s25, 22
	s_mov_b64 s[18:19], -1
	s_cbranch_scc0 .LBB8_106
; %bb.75:
	s_cmp_lt_i32 s25, 24
	s_mov_b64 s[6:7], -1
	s_cbranch_scc1 .LBB8_95
; %bb.76:
	s_cmp_gt_i32 s25, 24
	s_cbranch_scc0 .LBB8_84
; %bb.77:
	v_cvt_f32_f64_e32 v2, v[0:1]
	s_mov_b32 s6, 0x47800000
	v_mov_b32_e32 v6, 0x80
	v_and_b32_e32 v3, 0x7fffffff, v2
	v_cmp_gt_u32_e32 vcc, s6, v3
	s_and_saveexec_b64 s[6:7], vcc
	s_cbranch_execz .LBB8_83
; %bb.78:
	s_mov_b32 s18, 0x37ffffff
	v_cmp_lt_u32_e32 vcc, s18, v3
	s_mov_b64 s[18:19], 0
                                        ; implicit-def: $vgpr3
	s_and_saveexec_b64 s[22:23], vcc
	s_xor_b64 s[22:23], exec, s[22:23]
	s_cbranch_execz .LBB8_307
; %bb.79:
	v_bfe_u32 v3, v2, 21, 1
	s_mov_b32 s26, 0x88fffff
	v_add3_u32 v3, v2, v3, s26
	s_mov_b64 s[18:19], exec
	v_lshrrev_b32_e32 v3, 21, v3
	s_andn2_saveexec_b64 s[22:23], s[22:23]
	s_cbranch_execnz .LBB8_308
.LBB8_80:
	s_or_b64 exec, exec, s[22:23]
	v_mov_b32_e32 v6, 0
	s_and_saveexec_b64 s[22:23], s[18:19]
.LBB8_81:
	v_lshrrev_b32_e32 v2, 24, v2
	s_movk_i32 s18, 0x80
	v_and_or_b32 v6, v2, s18, v3
.LBB8_82:
	s_or_b64 exec, exec, s[22:23]
.LBB8_83:
	s_or_b64 exec, exec, s[6:7]
	s_mov_b64 s[6:7], 0
	global_store_byte v[4:5], v6, off
.LBB8_84:
	s_and_b64 vcc, exec, s[6:7]
	s_cbranch_vccz .LBB8_94
; %bb.85:
	v_cvt_f32_f64_e32 v2, v[0:1]
	s_mov_b32 s6, 0x43f00000
                                        ; implicit-def: $vgpr3
	v_and_b32_e32 v6, 0x7fffffff, v2
	v_cmp_gt_u32_e32 vcc, s6, v6
	s_and_saveexec_b64 s[6:7], vcc
	s_xor_b64 s[6:7], exec, s[6:7]
	s_cbranch_execz .LBB8_91
; %bb.86:
	s_mov_b32 s18, 0x3c7fffff
	v_cmp_lt_u32_e32 vcc, s18, v6
                                        ; implicit-def: $vgpr3
	s_and_saveexec_b64 s[18:19], vcc
	s_xor_b64 s[18:19], exec, s[18:19]
; %bb.87:
	v_bfe_u32 v3, v2, 20, 1
	s_mov_b32 s22, 0x407ffff
	v_add3_u32 v3, v2, v3, s22
	v_lshrrev_b32_e32 v6, 20, v3
	v_and_b32_e32 v3, 0xff00000, v3
	s_mov_b32 s22, 0x7f00000
	v_mov_b32_e32 v7, 0x7e
	v_cmp_ne_u32_e32 vcc, s22, v3
	v_cndmask_b32_e32 v3, v7, v6, vcc
; %bb.88:
	s_andn2_saveexec_b64 s[18:19], s[18:19]
; %bb.89:
	s_mov_b32 s22, 0x46800000
	v_add_f32_e64 v3, |v2|, s22
; %bb.90:
	s_or_b64 exec, exec, s[18:19]
                                        ; implicit-def: $vgpr6
.LBB8_91:
	s_andn2_saveexec_b64 s[6:7], s[6:7]
; %bb.92:
	s_mov_b32 s18, 0x7f800000
	v_mov_b32_e32 v3, 0x7e
	v_mov_b32_e32 v7, 0x7f
	v_cmp_lt_u32_e32 vcc, s18, v6
	v_cndmask_b32_e32 v3, v3, v7, vcc
; %bb.93:
	s_or_b64 exec, exec, s[6:7]
	v_lshrrev_b32_e32 v2, 24, v2
	s_movk_i32 s6, 0x80
	v_and_or_b32 v2, v2, s6, v3
	global_store_byte v[4:5], v2, off
.LBB8_94:
	s_mov_b64 s[6:7], 0
.LBB8_95:
	s_andn2_b64 vcc, exec, s[6:7]
	s_cbranch_vccnz .LBB8_105
; %bb.96:
	v_cvt_f32_f64_e32 v2, v[0:1]
	s_mov_b32 s6, 0x47800000
                                        ; implicit-def: $vgpr3
	v_and_b32_e32 v6, 0x7fffffff, v2
	v_cmp_gt_u32_e32 vcc, s6, v6
	s_and_saveexec_b64 s[6:7], vcc
	s_xor_b64 s[6:7], exec, s[6:7]
	s_cbranch_execz .LBB8_102
; %bb.97:
	s_mov_b32 s18, 0x387fffff
	v_cmp_lt_u32_e32 vcc, s18, v6
                                        ; implicit-def: $vgpr3
	s_and_saveexec_b64 s[18:19], vcc
	s_xor_b64 s[18:19], exec, s[18:19]
; %bb.98:
	v_bfe_u32 v3, v2, 21, 1
	s_mov_b32 s22, 0x80fffff
	v_add3_u32 v3, v2, v3, s22
	v_lshrrev_b32_e32 v3, 21, v3
; %bb.99:
	s_andn2_saveexec_b64 s[18:19], s[18:19]
; %bb.100:
	s_mov_b32 s22, 0x43000000
	v_add_f32_e64 v3, |v2|, s22
; %bb.101:
	s_or_b64 exec, exec, s[18:19]
                                        ; implicit-def: $vgpr6
.LBB8_102:
	s_andn2_saveexec_b64 s[6:7], s[6:7]
; %bb.103:
	s_mov_b32 s18, 0x7f800000
	v_mov_b32_e32 v3, 0x7c
	v_mov_b32_e32 v7, 0x7f
	v_cmp_lt_u32_e32 vcc, s18, v6
	v_cndmask_b32_e32 v3, v3, v7, vcc
; %bb.104:
	s_or_b64 exec, exec, s[6:7]
	v_lshrrev_b32_e32 v2, 24, v2
	s_movk_i32 s6, 0x80
	v_and_or_b32 v2, v2, s6, v3
	global_store_byte v[4:5], v2, off
.LBB8_105:
	s_mov_b64 s[18:19], 0
	s_mov_b64 s[6:7], -1
.LBB8_106:
	s_andn2_b64 vcc, exec, s[18:19]
	s_cbranch_vccnz .LBB8_114
; %bb.107:
	s_cmp_gt_i32 s25, 14
	s_mov_b64 s[18:19], -1
	s_cbranch_scc0 .LBB8_111
; %bb.108:
	s_cmp_eq_u32 s25, 15
	s_mov_b64 s[0:1], -1
	s_cbranch_scc0 .LBB8_110
; %bb.109:
	v_cvt_f32_f64_e32 v2, v[0:1]
	s_movk_i32 s0, 0x7fff
	v_mov_b32_e32 v3, 0x7fc0
	s_mov_b64 s[6:7], -1
	v_bfe_u32 v6, v2, 16, 1
	v_cmp_o_f32_e32 vcc, v2, v2
	v_add3_u32 v2, v2, v6, s0
	v_cndmask_b32_sdwa v2, v3, v2, vcc dst_sel:DWORD dst_unused:UNUSED_PAD src0_sel:DWORD src1_sel:WORD_1
	global_store_short v[4:5], v2, off
	s_mov_b64 s[0:1], 0
.LBB8_110:
	s_mov_b64 s[18:19], 0
.LBB8_111:
	s_and_b64 vcc, exec, s[18:19]
	s_cbranch_vccz .LBB8_114
; %bb.112:
	s_cmp_eq_u32 s25, 11
	s_mov_b64 s[0:1], -1
	s_cbranch_scc0 .LBB8_114
; %bb.113:
	v_cmp_neq_f64_e32 vcc, 0, v[0:1]
	s_mov_b64 s[0:1], 0
	s_mov_b64 s[6:7], -1
	v_cndmask_b32_e64 v2, 0, 1, vcc
	global_store_byte v[4:5], v2, off
.LBB8_114:
	s_branch .LBB8_32
.LBB8_115:
	s_and_b32 s18, 0xffff, s24
	s_cmp_lt_i32 s18, 5
	s_mov_b64 s[6:7], -1
	s_cbranch_scc1 .LBB8_136
; %bb.116:
	s_cmp_lt_i32 s18, 8
	s_cbranch_scc1 .LBB8_126
; %bb.117:
	s_cmp_lt_i32 s18, 9
	s_cbranch_scc1 .LBB8_123
; %bb.118:
	s_cmp_gt_i32 s18, 9
	s_cbranch_scc0 .LBB8_120
; %bb.119:
	v_mov_b32_e32 v2, 0
	v_mov_b32_e32 v3, v2
	global_store_dwordx4 v[4:5], v[0:3], off
	s_mov_b64 s[6:7], 0
.LBB8_120:
	s_andn2_b64 vcc, exec, s[6:7]
	s_cbranch_vccnz .LBB8_122
; %bb.121:
	v_cvt_f32_f64_e32 v2, v[0:1]
	v_mov_b32_e32 v3, 0
	global_store_dwordx2 v[4:5], v[2:3], off
.LBB8_122:
	s_mov_b64 s[6:7], 0
.LBB8_123:
	s_andn2_b64 vcc, exec, s[6:7]
	s_cbranch_vccnz .LBB8_125
; %bb.124:
	s_movk_i32 s6, 0x1ff
	v_and_or_b32 v2, v1, s6, v0
	v_cmp_ne_u32_e32 vcc, 0, v2
	v_cndmask_b32_e64 v2, 0, 1, vcc
	v_lshrrev_b32_e32 v3, 8, v1
	s_movk_i32 s6, 0xffe
	v_bfe_u32 v6, v1, 20, 11
	v_and_or_b32 v2, v3, s6, v2
	v_sub_u32_e32 v7, 0x3f1, v6
	v_or_b32_e32 v3, 0x1000, v2
	v_med3_i32 v7, v7, 0, 13
	v_lshrrev_b32_e32 v8, v7, v3
	v_lshlrev_b32_e32 v7, v7, v8
	v_cmp_ne_u32_e32 vcc, v7, v3
	v_cndmask_b32_e64 v3, 0, 1, vcc
	v_add_u32_e32 v6, 0xfffffc10, v6
	v_or_b32_e32 v3, v8, v3
	v_lshl_or_b32 v7, v6, 12, v2
	v_cmp_gt_i32_e32 vcc, 1, v6
	v_cndmask_b32_e32 v3, v7, v3, vcc
	v_and_b32_e32 v7, 7, v3
	v_cmp_lt_i32_e32 vcc, 5, v7
	v_cndmask_b32_e64 v8, 0, 1, vcc
	v_cmp_eq_u32_e32 vcc, 3, v7
	v_cndmask_b32_e64 v7, 0, 1, vcc
	v_or_b32_e32 v7, v7, v8
	v_lshrrev_b32_e32 v3, 2, v3
	v_add_u32_e32 v3, v3, v7
	v_mov_b32_e32 v7, 0x7c00
	v_cmp_gt_i32_e32 vcc, 31, v6
	v_cndmask_b32_e32 v3, v7, v3, vcc
	v_mov_b32_e32 v8, 0x7e00
	v_cmp_ne_u32_e32 vcc, 0, v2
	s_movk_i32 s6, 0x40f
	v_cndmask_b32_e32 v2, v7, v8, vcc
	v_cmp_eq_u32_e32 vcc, s6, v6
	v_cndmask_b32_e32 v2, v3, v2, vcc
	v_lshrrev_b32_e32 v3, 16, v1
	s_mov_b32 s6, 0x8000
	v_and_or_b32 v2, v3, s6, v2
	v_and_b32_e32 v2, 0xffff, v2
	global_store_dword v[4:5], v2, off
.LBB8_125:
	s_mov_b64 s[6:7], 0
.LBB8_126:
	s_andn2_b64 vcc, exec, s[6:7]
	s_cbranch_vccnz .LBB8_135
; %bb.127:
	s_cmp_lt_i32 s18, 6
	s_mov_b64 s[6:7], -1
	s_cbranch_scc1 .LBB8_133
; %bb.128:
	s_cmp_gt_i32 s18, 6
	s_cbranch_scc0 .LBB8_130
; %bb.129:
	global_store_dwordx2 v[4:5], v[0:1], off
	s_mov_b64 s[6:7], 0
.LBB8_130:
	s_andn2_b64 vcc, exec, s[6:7]
	s_cbranch_vccnz .LBB8_132
; %bb.131:
	v_cvt_f32_f64_e32 v2, v[0:1]
	global_store_dword v[4:5], v2, off
.LBB8_132:
	s_mov_b64 s[6:7], 0
.LBB8_133:
	s_andn2_b64 vcc, exec, s[6:7]
	s_cbranch_vccnz .LBB8_135
; %bb.134:
	s_movk_i32 s6, 0x1ff
	v_and_or_b32 v2, v1, s6, v0
	v_cmp_ne_u32_e32 vcc, 0, v2
	v_cndmask_b32_e64 v2, 0, 1, vcc
	v_lshrrev_b32_e32 v3, 8, v1
	s_movk_i32 s6, 0xffe
	v_bfe_u32 v6, v1, 20, 11
	v_and_or_b32 v2, v3, s6, v2
	v_sub_u32_e32 v7, 0x3f1, v6
	v_or_b32_e32 v3, 0x1000, v2
	v_med3_i32 v7, v7, 0, 13
	v_lshrrev_b32_e32 v8, v7, v3
	v_lshlrev_b32_e32 v7, v7, v8
	v_cmp_ne_u32_e32 vcc, v7, v3
	v_cndmask_b32_e64 v3, 0, 1, vcc
	v_add_u32_e32 v6, 0xfffffc10, v6
	v_or_b32_e32 v3, v8, v3
	v_lshl_or_b32 v7, v6, 12, v2
	v_cmp_gt_i32_e32 vcc, 1, v6
	v_cndmask_b32_e32 v3, v7, v3, vcc
	v_and_b32_e32 v7, 7, v3
	v_cmp_lt_i32_e32 vcc, 5, v7
	v_cndmask_b32_e64 v8, 0, 1, vcc
	v_cmp_eq_u32_e32 vcc, 3, v7
	v_cndmask_b32_e64 v7, 0, 1, vcc
	v_or_b32_e32 v7, v7, v8
	v_lshrrev_b32_e32 v3, 2, v3
	v_add_u32_e32 v3, v3, v7
	v_mov_b32_e32 v7, 0x7c00
	v_cmp_gt_i32_e32 vcc, 31, v6
	v_cndmask_b32_e32 v3, v7, v3, vcc
	v_mov_b32_e32 v8, 0x7e00
	v_cmp_ne_u32_e32 vcc, 0, v2
	s_movk_i32 s6, 0x40f
	v_cndmask_b32_e32 v2, v7, v8, vcc
	v_cmp_eq_u32_e32 vcc, s6, v6
	v_cndmask_b32_e32 v2, v3, v2, vcc
	v_lshrrev_b32_e32 v3, 16, v1
	s_mov_b32 s6, 0x8000
	v_and_or_b32 v2, v3, s6, v2
	global_store_short v[4:5], v2, off
.LBB8_135:
	s_mov_b64 s[6:7], 0
.LBB8_136:
	s_andn2_b64 vcc, exec, s[6:7]
	s_cbranch_vccnz .LBB8_152
; %bb.137:
	s_cmp_lt_i32 s18, 2
	s_mov_b64 s[6:7], -1
	s_cbranch_scc1 .LBB8_147
; %bb.138:
	s_cmp_lt_i32 s18, 3
	s_cbranch_scc1 .LBB8_144
; %bb.139:
	s_cmp_gt_i32 s18, 3
	s_cbranch_scc0 .LBB8_141
; %bb.140:
	v_trunc_f64_e32 v[2:3], v[0:1]
	s_movk_i32 s6, 0xffe0
	v_ldexp_f64 v[6:7], v[2:3], s6
	s_mov_b32 s6, 0
	s_mov_b32 s7, 0xc1f00000
	v_floor_f64_e32 v[6:7], v[6:7]
	v_fma_f64 v[2:3], v[6:7], s[6:7], v[2:3]
	v_cvt_i32_f64_e32 v7, v[6:7]
	s_mov_b64 s[6:7], 0
	v_cvt_u32_f64_e32 v6, v[2:3]
	global_store_dwordx2 v[4:5], v[6:7], off
.LBB8_141:
	s_andn2_b64 vcc, exec, s[6:7]
	s_cbranch_vccnz .LBB8_143
; %bb.142:
	v_cvt_i32_f64_e32 v2, v[0:1]
	global_store_dword v[4:5], v2, off
.LBB8_143:
	s_mov_b64 s[6:7], 0
.LBB8_144:
	s_andn2_b64 vcc, exec, s[6:7]
	s_cbranch_vccnz .LBB8_146
; %bb.145:
	v_cvt_i32_f64_e32 v2, v[0:1]
	global_store_short v[4:5], v2, off
.LBB8_146:
	s_mov_b64 s[6:7], 0
.LBB8_147:
	s_andn2_b64 vcc, exec, s[6:7]
	s_cbranch_vccnz .LBB8_152
; %bb.148:
	s_cmp_gt_i32 s18, 0
	s_mov_b64 s[6:7], -1
	s_cbranch_scc0 .LBB8_150
; %bb.149:
	v_cvt_i32_f64_e32 v2, v[0:1]
	s_mov_b64 s[6:7], 0
	global_store_byte v[4:5], v2, off
.LBB8_150:
	s_andn2_b64 vcc, exec, s[6:7]
	s_cbranch_vccnz .LBB8_152
; %bb.151:
	v_trunc_f64_e32 v[0:1], v[0:1]
	s_movk_i32 s6, 0xffe0
	v_ldexp_f64 v[2:3], v[0:1], s6
	s_mov_b32 s6, 0
	s_mov_b32 s7, 0xc1f00000
	v_floor_f64_e32 v[2:3], v[2:3]
	v_fma_f64 v[0:1], v[2:3], s[6:7], v[0:1]
	v_cvt_u32_f64_e32 v0, v[0:1]
	global_store_byte v[4:5], v0, off
.LBB8_152:
	s_branch .LBB8_33
.LBB8_153:
	s_mov_b64 s[18:19], 0
                                        ; implicit-def: $vgpr14
	s_branch .LBB8_263
.LBB8_154:
	s_mov_b64 s[14:15], -1
                                        ; implicit-def: $vgpr2_vgpr3
.LBB8_155:
	s_mov_b64 s[6:7], 0
.LBB8_156:
	s_and_b64 vcc, exec, s[6:7]
	s_cbranch_vccz .LBB8_160
; %bb.157:
	s_cmp_eq_u32 s22, 29
	s_cbranch_scc0 .LBB8_159
; %bb.158:
	global_load_dwordx2 v[2:3], v[0:1], off
	s_mov_b64 s[0:1], -1
	s_mov_b64 s[14:15], 0
	s_mov_b64 s[6:7], 0
	s_waitcnt vmcnt(0)
	v_cvt_f64_u32_e32 v[3:4], v3
	v_cvt_f64_u32_e32 v[5:6], v2
	v_ldexp_f64 v[3:4], v[3:4], 32
	v_add_f64 v[2:3], v[3:4], v[5:6]
	s_branch .LBB8_161
.LBB8_159:
	s_mov_b64 s[14:15], -1
                                        ; implicit-def: $vgpr2_vgpr3
.LBB8_160:
	s_mov_b64 s[6:7], 0
.LBB8_161:
	s_and_b64 vcc, exec, s[6:7]
	s_cbranch_vccz .LBB8_181
; %bb.162:
	s_cmp_lt_i32 s22, 27
	s_cbranch_scc1 .LBB8_165
; %bb.163:
	s_cmp_gt_i32 s22, 27
	s_cbranch_scc0 .LBB8_166
; %bb.164:
	global_load_dword v2, v[0:1], off
	s_mov_b64 s[0:1], 0
	s_waitcnt vmcnt(0)
	v_cvt_f64_u32_e32 v[2:3], v2
	s_branch .LBB8_167
.LBB8_165:
	s_mov_b64 s[0:1], -1
                                        ; implicit-def: $vgpr2_vgpr3
	s_branch .LBB8_170
.LBB8_166:
	s_mov_b64 s[0:1], -1
                                        ; implicit-def: $vgpr2_vgpr3
.LBB8_167:
	s_andn2_b64 vcc, exec, s[0:1]
	s_cbranch_vccnz .LBB8_169
; %bb.168:
	global_load_ushort v2, v[0:1], off
	s_waitcnt vmcnt(0)
	v_cvt_f64_u32_e32 v[2:3], v2
.LBB8_169:
	s_mov_b64 s[0:1], 0
.LBB8_170:
	s_andn2_b64 vcc, exec, s[0:1]
	s_cbranch_vccnz .LBB8_180
; %bb.171:
	global_load_ubyte v4, v[0:1], off
	s_movk_i32 s0, 0x7f
	s_waitcnt vmcnt(0)
	v_cmp_lt_i16_e32 vcc, s0, v4
	s_mov_b64 s[0:1], 0
	s_and_saveexec_b64 s[6:7], vcc
	s_xor_b64 s[6:7], exec, s[6:7]
	s_cbranch_execz .LBB8_175
; %bb.172:
	s_movk_i32 s0, 0x80
	v_cmp_eq_u16_e32 vcc, s0, v4
	s_mov_b64 s[0:1], -1
	s_and_saveexec_b64 s[18:19], vcc
; %bb.173:
	s_xor_b64 s[0:1], exec, -1
; %bb.174:
	s_or_b64 exec, exec, s[18:19]
	s_and_b64 s[0:1], s[0:1], exec
.LBB8_175:
	s_or_saveexec_b64 s[6:7], s[6:7]
	v_bfrev_b32_e32 v2, 4
	v_mov_b32_e32 v3, 0x7ff80000
	s_xor_b64 exec, exec, s[6:7]
; %bb.176:
	v_cmp_ne_u16_e32 vcc, 0, v4
	v_mov_b32_e32 v2, 0
	s_andn2_b64 s[0:1], s[0:1], exec
	s_and_b64 s[18:19], vcc, exec
	v_mov_b32_e32 v3, 0
	s_or_b64 s[0:1], s[0:1], s[18:19]
; %bb.177:
	s_or_b64 exec, exec, s[6:7]
	s_and_saveexec_b64 s[6:7], s[0:1]
	s_cbranch_execz .LBB8_179
; %bb.178:
	v_and_b32_e32 v3, 0xffff, v4
	v_lshlrev_b32_e32 v2, 24, v4
	v_and_b32_e32 v4, 7, v3
	v_ffbh_u32_e32 v6, v4
	v_min_u32_e32 v6, 32, v6
	v_subrev_u32_e32 v7, 28, v6
	v_bfe_u32 v5, v3, 3, 4
	v_lshlrev_b32_e32 v3, v7, v3
	v_sub_u32_e32 v6, 29, v6
	v_and_b32_e32 v3, 7, v3
	v_cmp_eq_u32_e32 vcc, 0, v5
	v_cndmask_b32_e32 v5, v5, v6, vcc
	v_cndmask_b32_e32 v3, v4, v3, vcc
	v_mov_b32_e32 v4, 0x3b800000
	v_lshlrev_b32_e32 v3, 20, v3
	v_and_b32_e32 v2, 0x80000000, v2
	v_lshl_add_u32 v4, v5, 23, v4
	v_or3_b32 v2, v2, v4, v3
	v_cvt_f64_f32_e32 v[2:3], v2
.LBB8_179:
	s_or_b64 exec, exec, s[6:7]
.LBB8_180:
	s_mov_b64 s[0:1], -1
.LBB8_181:
	s_branch .LBB8_214
.LBB8_182:
	s_cmp_gt_i32 s22, 22
	s_cbranch_scc0 .LBB8_194
; %bb.183:
	s_cmp_lt_i32 s22, 24
	s_cbranch_scc1 .LBB8_195
; %bb.184:
	s_cmp_gt_i32 s22, 24
	s_cbranch_scc0 .LBB8_196
; %bb.185:
	global_load_ubyte v4, v[0:1], off
	s_movk_i32 s0, 0x7f
	s_waitcnt vmcnt(0)
	v_cmp_lt_i16_e32 vcc, s0, v4
	s_mov_b64 s[0:1], 0
	s_and_saveexec_b64 s[6:7], vcc
	s_xor_b64 s[6:7], exec, s[6:7]
	s_cbranch_execz .LBB8_189
; %bb.186:
	s_movk_i32 s0, 0x80
	v_cmp_eq_u16_e32 vcc, s0, v4
	s_mov_b64 s[0:1], -1
	s_and_saveexec_b64 s[18:19], vcc
; %bb.187:
	s_xor_b64 s[0:1], exec, -1
; %bb.188:
	s_or_b64 exec, exec, s[18:19]
	s_and_b64 s[0:1], s[0:1], exec
.LBB8_189:
	s_or_saveexec_b64 s[6:7], s[6:7]
	v_bfrev_b32_e32 v2, 4
	v_mov_b32_e32 v3, 0x7ff80000
	s_xor_b64 exec, exec, s[6:7]
; %bb.190:
	v_cmp_ne_u16_e32 vcc, 0, v4
	v_mov_b32_e32 v2, 0
	s_andn2_b64 s[0:1], s[0:1], exec
	s_and_b64 s[18:19], vcc, exec
	v_mov_b32_e32 v3, 0
	s_or_b64 s[0:1], s[0:1], s[18:19]
; %bb.191:
	s_or_b64 exec, exec, s[6:7]
	s_and_saveexec_b64 s[6:7], s[0:1]
	s_cbranch_execz .LBB8_193
; %bb.192:
	v_and_b32_e32 v3, 0xffff, v4
	v_lshlrev_b32_e32 v2, 24, v4
	v_and_b32_e32 v4, 3, v3
	v_ffbh_u32_e32 v6, v4
	v_min_u32_e32 v6, 32, v6
	v_subrev_u32_e32 v7, 29, v6
	v_bfe_u32 v5, v3, 2, 5
	v_lshlrev_b32_e32 v3, v7, v3
	v_sub_u32_e32 v6, 30, v6
	v_and_b32_e32 v3, 3, v3
	v_cmp_eq_u32_e32 vcc, 0, v5
	v_cndmask_b32_e32 v5, v5, v6, vcc
	v_cndmask_b32_e32 v3, v4, v3, vcc
	v_mov_b32_e32 v4, 0x37800000
	v_lshlrev_b32_e32 v3, 21, v3
	v_and_b32_e32 v2, 0x80000000, v2
	v_lshl_add_u32 v4, v5, 23, v4
	v_or3_b32 v2, v2, v4, v3
	v_cvt_f64_f32_e32 v[2:3], v2
.LBB8_193:
	s_or_b64 exec, exec, s[6:7]
	s_mov_b64 s[0:1], 0
	s_branch .LBB8_197
.LBB8_194:
	s_mov_b64 s[6:7], -1
                                        ; implicit-def: $vgpr2_vgpr3
	s_branch .LBB8_203
.LBB8_195:
	s_mov_b64 s[0:1], -1
                                        ; implicit-def: $vgpr2_vgpr3
	s_branch .LBB8_200
.LBB8_196:
	s_mov_b64 s[0:1], -1
                                        ; implicit-def: $vgpr2_vgpr3
.LBB8_197:
	s_and_b64 vcc, exec, s[0:1]
	s_cbranch_vccz .LBB8_199
; %bb.198:
	global_load_ubyte v2, v[0:1], off
	s_mov_b32 s0, 0x7f800000
	s_waitcnt vmcnt(0)
	v_lshlrev_b32_e32 v2, 24, v2
	v_and_b32_e32 v3, 0x7f000000, v2
	v_ffbh_u32_e32 v4, v3
	v_min_u32_e32 v4, 32, v4
	v_sub_u32_e64 v4, v4, 4 clamp
	v_lshlrev_b32_e32 v6, v4, v3
	v_lshlrev_b32_e32 v4, 23, v4
	v_lshrrev_b32_e32 v6, 4, v6
	v_add_u32_e32 v5, 0x1000000, v3
	v_sub_u32_e32 v4, v6, v4
	v_ashrrev_i32_e32 v5, 8, v5
	v_add_u32_e32 v4, 0x3c000000, v4
	v_and_or_b32 v4, v5, s0, v4
	v_cmp_ne_u32_e32 vcc, 0, v3
	v_cndmask_b32_e32 v3, 0, v4, vcc
	s_brev_b32 s0, 1
	v_and_or_b32 v2, v2, s0, v3
	v_cvt_f64_f32_e32 v[2:3], v2
.LBB8_199:
	s_mov_b64 s[0:1], 0
.LBB8_200:
	s_andn2_b64 vcc, exec, s[0:1]
	s_cbranch_vccnz .LBB8_202
; %bb.201:
	global_load_ubyte v2, v[0:1], off
	s_movk_i32 s0, 0x7f00
	s_brev_b32 s1, 16
	s_waitcnt vmcnt(0)
	v_lshlrev_b16_e32 v3, 8, v2
	v_lshlrev_b32_e32 v2, 25, v2
	v_lshrrev_b32_e32 v4, 4, v2
	v_and_or_b32 v5, v3, s0, 0.5
	v_or_b32_e32 v4, 0x70000000, v4
	v_add_f32_e32 v5, -0.5, v5
	v_mul_f32_e32 v4, 0x7800000, v4
	v_cmp_gt_u32_e32 vcc, s1, v2
	v_bfe_i32 v3, v3, 0, 16
	v_cndmask_b32_e32 v2, v4, v5, vcc
	s_brev_b32 s0, 1
	v_and_or_b32 v2, v3, s0, v2
	v_cvt_f64_f32_e32 v[2:3], v2
.LBB8_202:
	s_mov_b64 s[6:7], 0
	s_mov_b64 s[0:1], -1
.LBB8_203:
	s_andn2_b64 vcc, exec, s[6:7]
	s_cbranch_vccnz .LBB8_214
; %bb.204:
	s_cmp_gt_i32 s22, 14
	s_cbranch_scc0 .LBB8_207
; %bb.205:
	s_cmp_eq_u32 s22, 15
	s_cbranch_scc0 .LBB8_208
; %bb.206:
	global_load_ushort v2, v[0:1], off
	s_mov_b64 s[0:1], -1
	s_mov_b64 s[14:15], 0
	s_waitcnt vmcnt(0)
	v_lshlrev_b32_e32 v2, 16, v2
	v_cvt_f64_f32_e32 v[2:3], v2
	s_branch .LBB8_209
.LBB8_207:
	s_mov_b64 s[6:7], -1
                                        ; implicit-def: $vgpr2_vgpr3
	s_branch .LBB8_210
.LBB8_208:
	s_mov_b64 s[14:15], -1
                                        ; implicit-def: $vgpr2_vgpr3
.LBB8_209:
	s_mov_b64 s[6:7], 0
.LBB8_210:
	s_and_b64 vcc, exec, s[6:7]
	s_cbranch_vccz .LBB8_214
; %bb.211:
	s_cmp_eq_u32 s22, 11
	s_cbranch_scc0 .LBB8_213
; %bb.212:
	global_load_ubyte v3, v[0:1], off
	v_mov_b32_e32 v4, 0x3ff00000
	v_mov_b32_e32 v2, 0
	s_mov_b64 s[0:1], -1
	s_mov_b64 s[14:15], 0
	s_waitcnt vmcnt(0)
	v_cmp_ne_u16_e32 vcc, 0, v3
	v_cndmask_b32_e32 v3, 0, v4, vcc
	s_branch .LBB8_214
.LBB8_213:
	s_mov_b64 s[14:15], -1
                                        ; implicit-def: $vgpr2_vgpr3
.LBB8_214:
	s_branch .LBB8_10
.LBB8_215:
	s_cmp_lt_i32 s22, 5
	s_cbranch_scc1 .LBB8_220
; %bb.216:
	s_cmp_lt_i32 s22, 8
	s_cbranch_scc1 .LBB8_221
; %bb.217:
	;; [unrolled: 3-line block ×3, first 2 shown]
	s_cmp_gt_i32 s22, 9
	s_cbranch_scc0 .LBB8_223
; %bb.219:
	global_load_dwordx2 v[2:3], v[0:1], off
	s_mov_b64 s[0:1], 0
	s_branch .LBB8_224
.LBB8_220:
                                        ; implicit-def: $vgpr2_vgpr3
	s_branch .LBB8_242
.LBB8_221:
	s_mov_b64 s[0:1], -1
                                        ; implicit-def: $vgpr2_vgpr3
	s_branch .LBB8_230
.LBB8_222:
	s_mov_b64 s[0:1], -1
                                        ; implicit-def: $vgpr2_vgpr3
	s_branch .LBB8_227
.LBB8_223:
	s_mov_b64 s[0:1], -1
                                        ; implicit-def: $vgpr2_vgpr3
.LBB8_224:
	s_andn2_b64 vcc, exec, s[0:1]
	s_cbranch_vccnz .LBB8_226
; %bb.225:
	global_load_dword v2, v[0:1], off
	s_waitcnt vmcnt(0)
	v_cvt_f64_f32_e32 v[2:3], v2
.LBB8_226:
	s_mov_b64 s[0:1], 0
.LBB8_227:
	s_andn2_b64 vcc, exec, s[0:1]
	s_cbranch_vccnz .LBB8_229
; %bb.228:
	global_load_dword v2, v[0:1], off
	s_waitcnt vmcnt(0)
	v_cvt_f32_f16_e32 v2, v2
	v_cvt_f64_f32_e32 v[2:3], v2
.LBB8_229:
	s_mov_b64 s[0:1], 0
.LBB8_230:
	s_andn2_b64 vcc, exec, s[0:1]
	s_cbranch_vccnz .LBB8_241
; %bb.231:
	s_cmp_lt_i32 s22, 6
	s_cbranch_scc1 .LBB8_234
; %bb.232:
	s_cmp_gt_i32 s22, 6
	s_cbranch_scc0 .LBB8_235
; %bb.233:
	global_load_dwordx2 v[2:3], v[0:1], off
	s_mov_b64 s[0:1], 0
	s_branch .LBB8_236
.LBB8_234:
	s_mov_b64 s[0:1], -1
                                        ; implicit-def: $vgpr2_vgpr3
	s_branch .LBB8_239
.LBB8_235:
	s_mov_b64 s[0:1], -1
                                        ; implicit-def: $vgpr2_vgpr3
.LBB8_236:
	s_andn2_b64 vcc, exec, s[0:1]
	s_cbranch_vccnz .LBB8_238
; %bb.237:
	global_load_dword v2, v[0:1], off
	s_waitcnt vmcnt(0)
	v_cvt_f64_f32_e32 v[2:3], v2
.LBB8_238:
	s_mov_b64 s[0:1], 0
.LBB8_239:
	s_andn2_b64 vcc, exec, s[0:1]
	s_cbranch_vccnz .LBB8_241
; %bb.240:
	global_load_ushort v2, v[0:1], off
	s_waitcnt vmcnt(0)
	v_cvt_f32_f16_e32 v2, v2
	v_cvt_f64_f32_e32 v[2:3], v2
.LBB8_241:
	s_cbranch_execnz .LBB8_261
.LBB8_242:
	s_cmp_lt_i32 s22, 2
	s_cbranch_scc1 .LBB8_246
; %bb.243:
	s_cmp_lt_i32 s22, 3
	s_cbranch_scc1 .LBB8_247
; %bb.244:
	s_cmp_gt_i32 s22, 3
	s_cbranch_scc0 .LBB8_248
; %bb.245:
	global_load_dwordx2 v[2:3], v[0:1], off
	s_mov_b64 s[0:1], 0
	s_waitcnt vmcnt(0)
	v_cvt_f64_i32_e32 v[3:4], v3
	v_cvt_f64_u32_e32 v[5:6], v2
	v_ldexp_f64 v[3:4], v[3:4], 32
	v_add_f64 v[2:3], v[3:4], v[5:6]
	s_branch .LBB8_249
.LBB8_246:
	s_mov_b64 s[0:1], -1
                                        ; implicit-def: $vgpr2_vgpr3
	s_branch .LBB8_255
.LBB8_247:
	s_mov_b64 s[0:1], -1
                                        ; implicit-def: $vgpr2_vgpr3
	s_branch .LBB8_252
.LBB8_248:
	s_mov_b64 s[0:1], -1
                                        ; implicit-def: $vgpr2_vgpr3
.LBB8_249:
	s_andn2_b64 vcc, exec, s[0:1]
	s_cbranch_vccnz .LBB8_251
; %bb.250:
	global_load_dword v2, v[0:1], off
	s_waitcnt vmcnt(0)
	v_cvt_f64_i32_e32 v[2:3], v2
.LBB8_251:
	s_mov_b64 s[0:1], 0
.LBB8_252:
	s_andn2_b64 vcc, exec, s[0:1]
	s_cbranch_vccnz .LBB8_254
; %bb.253:
	global_load_sshort v2, v[0:1], off
	s_waitcnt vmcnt(0)
	v_cvt_f64_i32_e32 v[2:3], v2
.LBB8_254:
	s_mov_b64 s[0:1], 0
.LBB8_255:
	s_andn2_b64 vcc, exec, s[0:1]
	s_cbranch_vccnz .LBB8_261
; %bb.256:
	s_cmp_gt_i32 s22, 0
	s_cbranch_scc0 .LBB8_258
; %bb.257:
	global_load_sbyte v2, v[0:1], off
	s_mov_b64 s[0:1], 0
	s_waitcnt vmcnt(0)
	v_cvt_f64_i32_e32 v[2:3], v2
	s_branch .LBB8_259
.LBB8_258:
	s_mov_b64 s[0:1], -1
                                        ; implicit-def: $vgpr2_vgpr3
.LBB8_259:
	s_andn2_b64 vcc, exec, s[0:1]
	s_cbranch_vccnz .LBB8_261
; %bb.260:
	global_load_ubyte v0, v[0:1], off
	s_waitcnt vmcnt(0)
	v_cvt_f64_u32_e32 v[2:3], v0
.LBB8_261:
	s_branch .LBB8_11
.LBB8_262:
	s_mov_b64 s[0:1], 0
                                        ; implicit-def: $vgpr14
	s_mov_b64 s[18:19], 0
.LBB8_263:
	s_and_b64 s[6:7], s[0:1], exec
	s_and_b64 s[14:15], s[14:15], exec
	s_orn2_b64 s[18:19], s[18:19], exec
.LBB8_264:
	s_or_b64 exec, exec, s[16:17]
	s_mov_b64 s[22:23], 0
	s_mov_b64 s[0:1], 0
                                        ; implicit-def: $vgpr0_vgpr1
                                        ; implicit-def: $vgpr2_vgpr3
	s_and_saveexec_b64 s[16:17], s[18:19]
	s_cbranch_execz .LBB8_273
; %bb.265:
	v_cmp_gt_i32_e32 vcc, s38, v14
	s_mov_b64 s[0:1], -1
	s_mov_b64 s[18:19], s[14:15]
	s_mov_b64 s[20:21], s[6:7]
	s_and_saveexec_b64 s[22:23], vcc
	s_cbranch_execz .LBB8_537
; %bb.266:
	v_mul_lo_u32 v0, v14, s3
	v_mov_b32_e32 v1, s11
	s_and_b32 s26, 0xffff, s42
	s_cmp_lt_i32 s26, 11
	s_waitcnt vmcnt(0)
	v_ashrrev_i32_e32 v2, 31, v0
	v_add_co_u32_e32 v0, vcc, s10, v0
	v_addc_co_u32_e32 v1, vcc, v1, v2, vcc
	s_cbranch_scc1 .LBB8_276
; %bb.267:
	s_cmp_gt_i32 s26, 25
	s_cbranch_scc0 .LBB8_297
; %bb.268:
	s_cmp_gt_i32 s26, 28
	s_cbranch_scc0 .LBB8_299
	;; [unrolled: 3-line block ×4, first 2 shown]
; %bb.271:
	s_cmp_eq_u32 s26, 46
	s_mov_b64 s[20:21], 0
	s_cbranch_scc0 .LBB8_309
; %bb.272:
	global_load_dword v2, v[0:1], off
	s_mov_b64 s[18:19], 0
	s_waitcnt vmcnt(0)
	v_lshlrev_b32_e32 v2, 16, v2
	v_cvt_f64_f32_e32 v[2:3], v2
	s_branch .LBB8_310
.LBB8_273:
	s_or_b64 exec, exec, s[16:17]
	s_mov_b64 s[16:17], 0
	s_and_saveexec_b64 s[18:19], s[14:15]
	s_cbranch_execnz .LBB8_895
.LBB8_274:
	s_or_b64 exec, exec, s[18:19]
	s_and_saveexec_b64 s[14:15], s[20:21]
	s_xor_b64 s[14:15], exec, s[14:15]
	s_cbranch_execz .LBB8_896
.LBB8_275:
	global_load_ubyte v3, v[0:1], off
	v_mov_b32_e32 v4, 0x3ff00000
	s_waitcnt vmcnt(1)
	v_mov_b32_e32 v2, 0
	s_or_b64 s[0:1], s[0:1], exec
	s_waitcnt vmcnt(0)
	v_cmp_ne_u16_e32 vcc, 0, v3
	v_cndmask_b32_e32 v3, 0, v4, vcc
	s_or_b64 exec, exec, s[14:15]
	s_and_saveexec_b64 s[14:15], s[22:23]
	s_cbranch_execz .LBB8_942
	s_branch .LBB8_897
.LBB8_276:
	s_mov_b64 s[0:1], 0
                                        ; implicit-def: $vgpr2_vgpr3
	s_mov_b64 s[18:19], s[14:15]
	s_cbranch_execnz .LBB8_487
.LBB8_277:
	s_andn2_b64 vcc, exec, s[0:1]
	s_cbranch_vccnz .LBB8_535
.LBB8_278:
	s_mov_b32 s0, 0
	s_mov_b32 s1, 0x40200000
	s_waitcnt vmcnt(0)
	v_cmp_le_f64_e64 s[0:1], |v[2:3]|, s[0:1]
                                        ; implicit-def: $vgpr0_vgpr1
	s_and_saveexec_b64 s[20:21], s[0:1]
	s_xor_b64 s[0:1], exec, s[20:21]
	s_cbranch_execz .LBB8_284
; %bb.279:
	v_fma_f64 v[0:1], |v[2:3]|, 0.5, -2.0
	v_mov_b32_e32 v4, 0xc38a0576
	v_mov_b32_e32 v5, 0xbc7857d0
	s_mov_b32 s21, 0x3c499f2a
	s_mov_b32 s20, 0xc3c4014
	;; [unrolled: 1-line block ×4, first 2 shown]
	v_mov_b32_e32 v12, 0xfca7ab0c
	v_fma_f64 v[4:5], v[0:1], s[20:21], v[4:5]
	s_mov_b32 s21, 0xbc499f2a
	v_mov_b32_e32 v13, 0x3e928af3
	v_cmp_ngt_f64_e32 vcc, 0, v[2:3]
	v_fma_f64 v[6:7], v[0:1], v[4:5], s[20:21]
	s_mov_b32 s20, 0xe593bfac
	s_mov_b32 s21, 0x3ca663e3
	v_add_f64 v[6:7], v[6:7], s[20:21]
	s_mov_b32 s20, 0x7e0d1573
	s_mov_b32 s21, 0xbcd3eaaa
	v_fma_f64 v[4:5], v[0:1], v[6:7], -v[4:5]
	v_add_f64 v[4:5], v[4:5], s[20:21]
	s_mov_b32 s20, 0x615290c
	s_mov_b32 s21, 0x3d011d7f
	v_fma_f64 v[6:7], v[0:1], v[4:5], -v[6:7]
	;; [unrolled: 4-line block ×20, first 2 shown]
	v_add_f64 v[6:7], v[6:7], s[20:21]
	s_mov_b32 s20, 0x652b82fe
	s_mov_b32 s21, 0x3ff71547
	v_mul_f64 v[8:9], |v[2:3]|, s[20:21]
	s_mov_b32 s20, 0x7913a26a
	s_mov_b32 s21, 0xbf85a29f
	v_fma_f64 v[4:5], v[0:1], v[6:7], -v[4:5]
	v_rndne_f64_e32 v[8:9], v[8:9]
	v_add_f64 v[4:5], v[4:5], s[20:21]
	s_mov_b32 s20, 0xfefa39ef
	s_mov_b32 s21, 0xbfe62e42
	v_fma_f64 v[10:11], v[8:9], s[20:21], |v[2:3]|
	s_mov_b32 s20, 0xe7bb2349
	s_mov_b32 s21, 0x3f9951e3
	v_fma_f64 v[6:7], v[0:1], v[4:5], -v[6:7]
	v_fma_f64 v[10:11], v[8:9], s[24:25], v[10:11]
	s_mov_b32 s24, 0x623fde64
	s_mov_b32 s25, 0x3ec71dee
	v_cvt_i32_f64_e32 v8, v[8:9]
	v_add_f64 v[6:7], v[6:7], s[20:21]
	s_mov_b32 s20, 0x6a5dcb37
	s_mov_b32 s21, 0x3e5ade15
	v_fma_f64 v[12:13], v[10:11], s[20:21], v[12:13]
	s_mov_b32 s20, 0x537c9ebc
	s_mov_b32 s21, 0xbfab1bbc
	v_fma_f64 v[4:5], v[0:1], v[6:7], -v[4:5]
	v_fma_f64 v[12:13], v[10:11], v[12:13], s[24:25]
	s_mov_b32 s24, 0x14761f6e
	s_mov_b32 s25, 0x3f2a01a0
	v_add_f64 v[4:5], v[4:5], s[20:21]
	s_mov_b32 s20, 0x7c89e6b0
	s_mov_b32 s21, 0x3efa0199
	v_fma_f64 v[12:13], v[10:11], v[12:13], s[20:21]
	s_mov_b32 s20, 0xd536f53c
	s_mov_b32 s21, 0x3fba46da
	v_fma_f64 v[6:7], v[0:1], v[4:5], -v[6:7]
	v_fma_f64 v[12:13], v[10:11], v[12:13], s[24:25]
	s_mov_b32 s24, 0x11122322
	s_mov_b32 s25, 0x3f811111
	;; [unrolled: 10-line block ×3, first 2 shown]
	v_add_f64 v[4:5], v[4:5], s[20:21]
	s_mov_b32 s20, 0x555502a1
	s_mov_b32 s21, 0x3fa55555
	v_fma_f64 v[0:1], v[0:1], v[4:5], -v[6:7]
	v_fma_f64 v[4:5], v[10:11], v[12:13], s[20:21]
	s_mov_b32 s20, 0x724a7ffa
	s_mov_b32 s21, 0x3fd02a63
	v_add_f64 v[0:1], v[0:1], s[20:21]
	v_fma_f64 v[4:5], v[10:11], v[4:5], s[24:25]
	s_mov_b32 s20, 11
	s_mov_b32 s21, 0x3fe00000
	v_add_f64 v[0:1], v[0:1], -v[6:7]
	v_fma_f64 v[4:5], v[10:11], v[4:5], s[20:21]
	v_mul_f64 v[0:1], v[0:1], 0.5
	v_fma_f64 v[6:7], v[10:11], v[4:5], 1.0
	v_mul_f64 v[4:5], |v[2:3]|, v[0:1]
	v_fma_f64 v[6:7], v[10:11], v[6:7], 1.0
                                        ; implicit-def: $vgpr0_vgpr1
	s_and_saveexec_b64 s[20:21], vcc
	s_xor_b64 s[20:21], exec, s[20:21]
	s_cbranch_execz .LBB8_281
; %bb.280:
	s_mov_b32 s24, 0
	s_mov_b32 s25, 0x40900000
	v_ldexp_f64 v[0:1], v[6:7], v8
	v_cmp_ngt_f64_e64 vcc, |v[2:3]|, s[24:25]
	v_mov_b32_e32 v6, 0x7ff00000
                                        ; implicit-def: $vgpr8
                                        ; implicit-def: $vgpr2_vgpr3
	v_cndmask_b32_e32 v1, v6, v1, vcc
	v_cndmask_b32_e32 v0, 0, v0, vcc
	v_mul_f64 v[0:1], v[0:1], v[4:5]
                                        ; implicit-def: $vgpr6_vgpr7
                                        ; implicit-def: $vgpr4_vgpr5
.LBB8_281:
	s_andn2_saveexec_b64 s[20:21], s[20:21]
	s_cbranch_execz .LBB8_283
; %bb.282:
	s_mov_b32 s24, 0
	s_mov_b32 s25, 0x40900000
	v_ldexp_f64 v[0:1], -v[6:7], v8
	v_cmp_ngt_f64_e64 vcc, |v[2:3]|, s[24:25]
	v_mov_b32_e32 v6, 0xfff00000
	v_cndmask_b32_e32 v1, v6, v1, vcc
	v_cndmask_b32_e32 v0, 0, v0, vcc
	v_mul_f64 v[0:1], v[0:1], v[4:5]
.LBB8_283:
	s_or_b64 exec, exec, s[20:21]
                                        ; implicit-def: $vgpr2_vgpr3
.LBB8_284:
	s_andn2_saveexec_b64 s[20:21], s[0:1]
	s_cbranch_execz .LBB8_290
; %bb.285:
	s_mov_b32 s0, 0
	v_and_b32_e32 v1, 0x7fffffff, v3
	v_mov_b32_e32 v0, v2
	s_mov_b32 s1, 0x40400000
	v_div_scale_f64 v[4:5], s[24:25], v[0:1], v[0:1], s[0:1]
	v_div_scale_f64 v[0:1], vcc, s[0:1], v[0:1], s[0:1]
	v_mov_b32_e32 v12, 0xfca7ab0c
	v_mov_b32_e32 v13, 0x3e928af3
	v_rcp_f64_e32 v[6:7], v[4:5]
	v_fma_f64 v[8:9], -v[4:5], v[6:7], 1.0
	v_fma_f64 v[6:7], v[6:7], v[8:9], v[6:7]
	v_fma_f64 v[8:9], -v[4:5], v[6:7], 1.0
	v_fma_f64 v[6:7], v[6:7], v[8:9], v[6:7]
	v_mul_f64 v[8:9], v[0:1], v[6:7]
	v_fma_f64 v[0:1], -v[4:5], v[8:9], v[0:1]
	v_mov_b32_e32 v4, 0xea87b950
	v_mov_b32_e32 v5, 0x3c545b8a
	v_div_fmas_f64 v[0:1], v[0:1], v[6:7], v[8:9]
	v_cmp_ngt_f64_e32 vcc, 0, v[2:3]
	v_div_fixup_f64 v[0:1], v[0:1], |v[2:3]|, s[0:1]
	s_mov_b32 s1, 0x3c61556d
	s_mov_b32 s0, 0xb352e8e6
	v_add_f64 v[0:1], v[0:1], -2.0
	v_fma_f64 v[4:5], v[0:1], s[0:1], v[4:5]
	s_mov_b32 s1, 0xbc61556d
	v_fma_f64 v[6:7], v[0:1], v[4:5], s[0:1]
	s_mov_b32 s0, 0xb2532277
	s_mov_b32 s1, 0xbc8acea3
	v_add_f64 v[6:7], v[6:7], s[0:1]
	s_mov_b32 s0, 0x9c773320
	s_mov_b32 s1, 0xbc82806c
	v_fma_f64 v[4:5], v[0:1], v[6:7], -v[4:5]
	v_add_f64 v[4:5], v[4:5], s[0:1]
	s_mov_b32 s0, 0xfceb588a
	s_mov_b32 s1, 0x3cb55915
	v_fma_f64 v[6:7], v[0:1], v[4:5], -v[6:7]
	;; [unrolled: 4-line block ×14, first 2 shown]
	v_add_f64 v[6:7], v[6:7], s[0:1]
	s_mov_b32 s0, 0x652b82fe
	s_mov_b32 s1, 0x3ff71547
	v_mul_f64 v[8:9], |v[2:3]|, s[0:1]
	s_mov_b32 s0, 0x5423dd80
	s_mov_b32 s1, 0xbe0334ca
	v_fma_f64 v[4:5], v[0:1], v[6:7], -v[4:5]
	v_rndne_f64_e32 v[8:9], v[8:9]
	v_add_f64 v[4:5], v[4:5], s[0:1]
	s_mov_b32 s0, 0xfefa39ef
	s_mov_b32 s1, 0xbfe62e42
	v_fma_f64 v[10:11], v[8:9], s[0:1], |v[2:3]|
	s_mov_b32 s0, 0x9ad53528
	s_mov_b32 s1, 0xbe30790b
	v_fma_f64 v[6:7], v[0:1], v[4:5], -v[6:7]
	v_add_f64 v[6:7], v[6:7], s[0:1]
	s_mov_b32 s0, 0x3b39803f
	s_mov_b32 s1, 0xbc7abc9e
	v_fma_f64 v[10:11], v[8:9], s[0:1], v[10:11]
	s_mov_b32 s0, 0x6a5dcb37
	s_mov_b32 s1, 0x3e5ade15
	v_cvt_i32_f64_e32 v8, v[8:9]
	v_fma_f64 v[4:5], v[0:1], v[6:7], -v[4:5]
	v_fma_f64 v[12:13], v[10:11], s[0:1], v[12:13]
	s_mov_b32 s0, 0x94bb46c1
	s_mov_b32 s1, 0xbe5c4153
	v_add_f64 v[4:5], v[4:5], s[0:1]
	s_mov_b32 s0, 0x623fde64
	s_mov_b32 s1, 0x3ec71dee
	v_fma_f64 v[12:13], v[10:11], v[12:13], s[0:1]
	s_mov_b32 s0, 0x7c89e6b0
	s_mov_b32 s1, 0x3efa0199
	v_fma_f64 v[6:7], v[0:1], v[4:5], -v[6:7]
	v_fma_f64 v[12:13], v[10:11], v[12:13], s[0:1]
	s_mov_b32 s0, 0x2e9e5443
	s_mov_b32 s1, 0xbe90dbfd
	v_add_f64 v[6:7], v[6:7], s[0:1]
	s_mov_b32 s0, 0x14761f6e
	s_mov_b32 s1, 0x3f2a01a0
	v_fma_f64 v[12:13], v[10:11], v[12:13], s[0:1]
	s_mov_b32 s0, 0x1852b7b0
	s_mov_b32 s1, 0x3f56c16c
	;; [unrolled: 10-line block ×4, first 2 shown]
	v_fma_f64 v[4:5], v[0:1], v[6:7], -v[4:5]
	v_fma_f64 v[12:13], v[10:11], v[12:13], s[0:1]
	s_mov_b32 s0, 0x53fcdb4c
	s_mov_b32 s1, 0xbf83fda0
	v_add_f64 v[4:5], v[4:5], s[0:1]
	s_mov_b32 s0, 0xb55b1514
	s_mov_b32 s1, 0x3fe8ea18
	v_fma_f64 v[12:13], v[10:11], v[12:13], 1.0
	v_fma_f64 v[0:1], v[0:1], v[4:5], -v[6:7]
	v_fma_f64 v[4:5], v[10:11], v[12:13], 1.0
	v_add_f64 v[0:1], v[0:1], s[0:1]
	s_mov_b32 s0, 0
	s_mov_b32 s1, 0x40900000
	v_ldexp_f64 v[4:5], v[4:5], v8
	v_cmp_ngt_f64_e64 s[0:1], |v[2:3]|, s[0:1]
	v_mov_b32_e32 v8, 0x7ff00000
	v_add_f64 v[6:7], v[0:1], -v[6:7]
                                        ; implicit-def: $vgpr0_vgpr1
	v_cndmask_b32_e64 v5, v8, v5, s[0:1]
	v_cndmask_b32_e64 v4, 0, v4, s[0:1]
	s_and_saveexec_b64 s[0:1], vcc
	s_xor_b64 s[0:1], exec, s[0:1]
	s_cbranch_execz .LBB8_287
; %bb.286:
	s_mov_b32 s24, 0
	s_brev_b32 s25, 8
	v_cmp_lt_f64_e64 vcc, |v[2:3]|, s[24:25]
	v_mov_b32_e32 v0, 0x100
	v_mul_f64 v[6:7], v[6:7], 0.5
	v_cndmask_b32_e32 v0, 0, v0, vcc
	v_ldexp_f64 v[0:1], |v[2:3]|, v0
	v_mul_f64 v[4:5], v[4:5], v[6:7]
	v_rsq_f64_e32 v[2:3], v[0:1]
	v_mul_f64 v[8:9], v[0:1], v[2:3]
	v_mul_f64 v[2:3], v[2:3], 0.5
	v_fma_f64 v[10:11], -v[2:3], v[8:9], 0.5
	v_fma_f64 v[8:9], v[8:9], v[10:11], v[8:9]
	v_fma_f64 v[2:3], v[2:3], v[10:11], v[2:3]
	v_fma_f64 v[10:11], -v[8:9], v[8:9], v[0:1]
	v_fma_f64 v[8:9], v[10:11], v[2:3], v[8:9]
	v_fma_f64 v[10:11], -v[8:9], v[8:9], v[0:1]
	v_fma_f64 v[2:3], v[10:11], v[2:3], v[8:9]
	v_mov_b32_e32 v8, 0xffffff80
	v_mov_b32_e32 v9, 0x260
	v_cndmask_b32_e32 v8, 0, v8, vcc
	v_cmp_class_f64_e32 vcc, v[0:1], v9
	v_ldexp_f64 v[2:3], v[2:3], v8
	v_cndmask_b32_e32 v1, v3, v1, vcc
	v_cndmask_b32_e32 v0, v2, v0, vcc
	v_div_scale_f64 v[2:3], s[24:25], v[0:1], v[0:1], v[4:5]
	v_div_scale_f64 v[10:11], vcc, v[4:5], v[0:1], v[4:5]
	v_rcp_f64_e32 v[6:7], v[2:3]
	v_fma_f64 v[8:9], -v[2:3], v[6:7], 1.0
	v_fma_f64 v[6:7], v[6:7], v[8:9], v[6:7]
	v_fma_f64 v[8:9], -v[2:3], v[6:7], 1.0
	v_fma_f64 v[6:7], v[6:7], v[8:9], v[6:7]
	v_mul_f64 v[8:9], v[10:11], v[6:7]
	v_fma_f64 v[2:3], -v[2:3], v[8:9], v[10:11]
	v_div_fmas_f64 v[2:3], v[2:3], v[6:7], v[8:9]
                                        ; implicit-def: $vgpr6_vgpr7
	v_div_fixup_f64 v[0:1], v[2:3], v[0:1], v[4:5]
                                        ; implicit-def: $vgpr2_vgpr3
                                        ; implicit-def: $vgpr4_vgpr5
.LBB8_287:
	s_andn2_saveexec_b64 s[0:1], s[0:1]
	s_cbranch_execz .LBB8_289
; %bb.288:
	s_mov_b32 s24, 0
	s_brev_b32 s25, 8
	v_cmp_lt_f64_e64 vcc, |v[2:3]|, s[24:25]
	v_mov_b32_e32 v0, 0x100
	v_mul_f64 v[6:7], v[6:7], -0.5
	v_cndmask_b32_e32 v0, 0, v0, vcc
	v_ldexp_f64 v[0:1], |v[2:3]|, v0
	v_mul_f64 v[4:5], v[4:5], v[6:7]
	v_rsq_f64_e32 v[2:3], v[0:1]
	v_mul_f64 v[8:9], v[0:1], v[2:3]
	v_mul_f64 v[2:3], v[2:3], 0.5
	v_fma_f64 v[10:11], -v[2:3], v[8:9], 0.5
	v_fma_f64 v[8:9], v[8:9], v[10:11], v[8:9]
	v_fma_f64 v[2:3], v[2:3], v[10:11], v[2:3]
	v_fma_f64 v[10:11], -v[8:9], v[8:9], v[0:1]
	v_fma_f64 v[8:9], v[10:11], v[2:3], v[8:9]
	v_fma_f64 v[10:11], -v[8:9], v[8:9], v[0:1]
	v_fma_f64 v[2:3], v[10:11], v[2:3], v[8:9]
	v_mov_b32_e32 v8, 0xffffff80
	v_mov_b32_e32 v9, 0x260
	v_cndmask_b32_e32 v8, 0, v8, vcc
	v_cmp_class_f64_e32 vcc, v[0:1], v9
	v_ldexp_f64 v[2:3], v[2:3], v8
	v_cndmask_b32_e32 v1, v3, v1, vcc
	v_cndmask_b32_e32 v0, v2, v0, vcc
	v_div_scale_f64 v[2:3], s[24:25], v[0:1], v[0:1], v[4:5]
	v_div_scale_f64 v[10:11], vcc, v[4:5], v[0:1], v[4:5]
	v_rcp_f64_e32 v[6:7], v[2:3]
	v_fma_f64 v[8:9], -v[2:3], v[6:7], 1.0
	v_fma_f64 v[6:7], v[6:7], v[8:9], v[6:7]
	v_fma_f64 v[8:9], -v[2:3], v[6:7], 1.0
	v_fma_f64 v[6:7], v[6:7], v[8:9], v[6:7]
	v_mul_f64 v[8:9], v[10:11], v[6:7]
	v_fma_f64 v[2:3], -v[2:3], v[8:9], v[10:11]
	v_div_fmas_f64 v[2:3], v[2:3], v[6:7], v[8:9]
	v_div_fixup_f64 v[0:1], v[2:3], v[0:1], v[4:5]
.LBB8_289:
	s_or_b64 exec, exec, s[0:1]
.LBB8_290:
	s_or_b64 exec, exec, s[20:21]
	v_mul_lo_u32 v2, v14, s2
	v_mov_b32_e32 v3, s9
	s_and_b32 s28, s33, 0xff
	s_cmp_lt_i32 s28, 11
	v_ashrrev_i32_e32 v5, 31, v2
	v_add_co_u32_e32 v4, vcc, s8, v2
	v_addc_co_u32_e32 v5, vcc, v3, v5, vcc
	s_cbranch_scc1 .LBB8_298
; %bb.291:
	s_and_b32 s29, 0xffff, s28
	s_cmp_gt_i32 s29, 25
	s_cbranch_scc0 .LBB8_300
; %bb.292:
	s_cmp_gt_i32 s29, 28
	s_cbranch_scc0 .LBB8_302
; %bb.293:
	;; [unrolled: 3-line block ×4, first 2 shown]
	s_mov_b64 s[24:25], 0
	s_mov_b64 s[0:1], -1
	s_cmp_eq_u32 s29, 46
	s_mov_b64 s[20:21], 0
	s_cbranch_scc0 .LBB8_314
; %bb.296:
	v_cvt_f32_f64_e32 v2, v[0:1]
	s_movk_i32 s0, 0x7fff
	v_mov_b32_e32 v3, 0x7fc0
	s_mov_b64 s[20:21], -1
	v_bfe_u32 v6, v2, 16, 1
	v_cmp_o_f32_e32 vcc, v2, v2
	v_add3_u32 v2, v2, v6, s0
	v_cndmask_b32_sdwa v2, v3, v2, vcc dst_sel:DWORD dst_unused:UNUSED_PAD src0_sel:DWORD src1_sel:WORD_1
	global_store_dword v[4:5], v2, off
	s_mov_b64 s[0:1], 0
	s_branch .LBB8_314
.LBB8_297:
	s_mov_b64 s[20:21], -1
	s_mov_b64 s[0:1], 0
	s_mov_b64 s[18:19], s[14:15]
                                        ; implicit-def: $vgpr2_vgpr3
	s_branch .LBB8_453
.LBB8_298:
	s_mov_b64 s[24:25], -1
	s_mov_b64 s[20:21], 0
	s_mov_b64 s[0:1], s[6:7]
	s_branch .LBB8_383
.LBB8_299:
	s_mov_b64 s[20:21], -1
	s_mov_b64 s[0:1], 0
	s_mov_b64 s[18:19], s[14:15]
                                        ; implicit-def: $vgpr2_vgpr3
	s_branch .LBB8_432
.LBB8_300:
	s_mov_b64 s[24:25], -1
	s_mov_b64 s[20:21], 0
	s_mov_b64 s[0:1], s[6:7]
	s_branch .LBB8_341
.LBB8_301:
	s_mov_b64 s[20:21], -1
	s_mov_b64 s[0:1], 0
	s_mov_b64 s[18:19], s[14:15]
                                        ; implicit-def: $vgpr2_vgpr3
	s_branch .LBB8_427
.LBB8_302:
	s_mov_b64 s[24:25], -1
	s_mov_b64 s[20:21], 0
	s_mov_b64 s[0:1], s[6:7]
	s_branch .LBB8_324
.LBB8_303:
	s_andn2_saveexec_b64 s[22:23], s[22:23]
	s_cbranch_execz .LBB8_67
.LBB8_304:
	s_mov_b32 s26, 0x46000000
	v_add_f32_e64 v3, |v2|, s26
	v_and_b32_e32 v3, 0xff, v3
	v_cmp_ne_u32_e32 vcc, 0, v3
	s_andn2_b64 s[18:19], s[18:19], exec
	s_and_b64 s[26:27], vcc, exec
	s_or_b64 s[18:19], s[18:19], s[26:27]
	s_or_b64 exec, exec, s[22:23]
	v_mov_b32_e32 v6, 0
	s_and_saveexec_b64 s[22:23], s[18:19]
	s_cbranch_execnz .LBB8_68
	s_branch .LBB8_69
.LBB8_305:
	s_mov_b64 s[20:21], -1
	s_mov_b64 s[0:1], 0
	s_mov_b64 s[18:19], s[14:15]
                                        ; implicit-def: $vgpr2_vgpr3
	s_branch .LBB8_310
.LBB8_306:
	s_mov_b64 s[24:25], -1
	s_mov_b64 s[20:21], 0
	s_mov_b64 s[0:1], s[6:7]
	s_branch .LBB8_320
.LBB8_307:
	s_andn2_saveexec_b64 s[22:23], s[22:23]
	s_cbranch_execz .LBB8_80
.LBB8_308:
	s_mov_b32 s26, 0x42800000
	v_add_f32_e64 v3, |v2|, s26
	v_and_b32_e32 v3, 0xff, v3
	v_cmp_ne_u32_e32 vcc, 0, v3
	s_andn2_b64 s[18:19], s[18:19], exec
	s_and_b64 s[26:27], vcc, exec
	s_or_b64 s[18:19], s[18:19], s[26:27]
	s_or_b64 exec, exec, s[22:23]
	v_mov_b32_e32 v6, 0
	s_and_saveexec_b64 s[22:23], s[18:19]
	s_cbranch_execnz .LBB8_81
	s_branch .LBB8_82
.LBB8_309:
	s_mov_b64 s[18:19], -1
                                        ; implicit-def: $vgpr2_vgpr3
	s_mov_b64 s[0:1], 0
.LBB8_310:
	s_and_b64 vcc, exec, s[20:21]
	s_cbranch_vccz .LBB8_426
; %bb.311:
	s_cmp_eq_u32 s26, 44
	s_cbranch_scc0 .LBB8_425
; %bb.312:
	global_load_ubyte v4, v[0:1], off
	s_movk_i32 s18, 0xff
	v_bfrev_b32_e32 v5, 4
	v_mov_b32_e32 v6, 0x7ff80000
	v_bfrev_b32_e32 v7, 28
	s_mov_b64 s[0:1], -1
	s_waitcnt vmcnt(0)
	v_lshlrev_b32_e32 v2, 23, v4
	v_cvt_f64_f32_e32 v[2:3], v2
	v_cmp_ne_u32_e32 vcc, s18, v4
	s_mov_b64 s[18:19], 0
	v_cndmask_b32_e32 v2, v5, v2, vcc
	v_cndmask_b32_e32 v3, v6, v3, vcc
	v_cmp_ne_u32_e32 vcc, 0, v4
	v_cndmask_b32_e32 v3, v7, v3, vcc
	v_cndmask_b32_e32 v2, 0, v2, vcc
	s_branch .LBB8_426
.LBB8_313:
	s_mov_b64 s[24:25], -1
	s_mov_b64 s[20:21], 0
	s_mov_b64 s[0:1], s[6:7]
.LBB8_314:
	s_and_b64 vcc, exec, s[24:25]
	s_cbranch_vccz .LBB8_319
; %bb.315:
	s_cmp_eq_u32 s29, 44
	s_mov_b64 s[0:1], -1
	s_cbranch_scc0 .LBB8_319
; %bb.316:
	v_cvt_f32_f64_e32 v2, v[0:1]
	s_movk_i32 s0, 0xff
	v_mov_b32_e32 v6, 0xff
	v_bfe_u32 v3, v2, 23, 8
	v_cmp_ne_u32_e32 vcc, s0, v3
	s_and_saveexec_b64 s[20:21], vcc
; %bb.317:
	s_mov_b32 s0, 0x3fffff
	v_lshrrev_b32_e32 v6, 23, v2
	v_and_b32_e32 v7, 0x400000, v2
	v_and_or_b32 v2, v2, s0, v3
	v_cmp_ne_u32_e32 vcc, 0, v7
	v_cmp_ne_u32_e64 s[0:1], 0, v2
	s_and_b64 s[0:1], vcc, s[0:1]
	v_cndmask_b32_e64 v2, 0, 1, s[0:1]
	v_add_u32_e32 v6, v6, v2
; %bb.318:
	s_or_b64 exec, exec, s[20:21]
	s_mov_b64 s[20:21], -1
	s_mov_b64 s[0:1], 0
	global_store_byte v[4:5], v6, off
.LBB8_319:
	s_mov_b64 s[24:25], 0
.LBB8_320:
	s_and_b64 vcc, exec, s[24:25]
	s_cbranch_vccz .LBB8_323
; %bb.321:
	s_cmp_eq_u32 s29, 29
	s_mov_b64 s[0:1], -1
	s_cbranch_scc0 .LBB8_323
; %bb.322:
	v_trunc_f64_e32 v[2:3], v[0:1]
	s_movk_i32 s0, 0xffe0
	s_mov_b64 s[20:21], -1
	s_mov_b64 s[24:25], 0
	v_ldexp_f64 v[6:7], v[2:3], s0
	s_mov_b32 s0, 0
	s_mov_b32 s1, 0xc1f00000
	v_floor_f64_e32 v[6:7], v[6:7]
	v_fma_f64 v[2:3], v[6:7], s[0:1], v[2:3]
	v_cvt_u32_f64_e32 v7, v[6:7]
	s_mov_b64 s[0:1], 0
	v_cvt_u32_f64_e32 v6, v[2:3]
	global_store_dwordx2 v[4:5], v[6:7], off
	s_branch .LBB8_324
.LBB8_323:
	s_mov_b64 s[24:25], 0
.LBB8_324:
	s_and_b64 vcc, exec, s[24:25]
	s_cbranch_vccz .LBB8_340
; %bb.325:
	s_cmp_lt_i32 s29, 27
	s_mov_b64 s[20:21], -1
	s_cbranch_scc1 .LBB8_331
; %bb.326:
	v_cvt_u32_f64_e32 v2, v[0:1]
	s_cmp_gt_i32 s29, 27
	s_cbranch_scc0 .LBB8_328
; %bb.327:
	s_mov_b64 s[20:21], 0
	global_store_dword v[4:5], v2, off
.LBB8_328:
	s_andn2_b64 vcc, exec, s[20:21]
	s_cbranch_vccnz .LBB8_330
; %bb.329:
	global_store_short v[4:5], v2, off
.LBB8_330:
	s_mov_b64 s[20:21], 0
.LBB8_331:
	s_andn2_b64 vcc, exec, s[20:21]
	s_cbranch_vccnz .LBB8_339
; %bb.332:
	v_cvt_f32_f64_e32 v2, v[0:1]
	s_mov_b32 s20, 0x43800000
	v_mov_b32_e32 v6, 0x80
	v_and_b32_e32 v3, 0x7fffffff, v2
	v_cmp_gt_u32_e32 vcc, s20, v3
	s_and_saveexec_b64 s[20:21], vcc
	s_cbranch_execz .LBB8_338
; %bb.333:
	s_mov_b32 s24, 0x3bffffff
	v_cmp_lt_u32_e32 vcc, s24, v3
	s_mov_b64 s[24:25], 0
                                        ; implicit-def: $vgpr3
	s_and_saveexec_b64 s[26:27], vcc
	s_xor_b64 s[26:27], exec, s[26:27]
	s_cbranch_execz .LBB8_550
; %bb.334:
	v_bfe_u32 v3, v2, 20, 1
	s_mov_b32 s30, 0x487ffff
	v_add3_u32 v3, v2, v3, s30
	s_mov_b64 s[24:25], exec
	v_lshrrev_b32_e32 v3, 20, v3
	s_andn2_saveexec_b64 s[26:27], s[26:27]
	s_cbranch_execnz .LBB8_551
.LBB8_335:
	s_or_b64 exec, exec, s[26:27]
	v_mov_b32_e32 v6, 0
	s_and_saveexec_b64 s[26:27], s[24:25]
.LBB8_336:
	v_lshrrev_b32_e32 v2, 24, v2
	s_movk_i32 s24, 0x80
	v_and_or_b32 v6, v2, s24, v3
.LBB8_337:
	s_or_b64 exec, exec, s[26:27]
.LBB8_338:
	s_or_b64 exec, exec, s[20:21]
	global_store_byte v[4:5], v6, off
.LBB8_339:
	s_mov_b64 s[20:21], -1
.LBB8_340:
	s_mov_b64 s[24:25], 0
.LBB8_341:
	s_and_b64 vcc, exec, s[24:25]
	s_cbranch_vccz .LBB8_382
; %bb.342:
	s_cmp_gt_i32 s29, 22
	s_mov_b64 s[24:25], -1
	s_cbranch_scc0 .LBB8_374
; %bb.343:
	s_cmp_lt_i32 s29, 24
	s_mov_b64 s[20:21], -1
	s_cbranch_scc1 .LBB8_363
; %bb.344:
	s_cmp_gt_i32 s29, 24
	s_cbranch_scc0 .LBB8_352
; %bb.345:
	v_cvt_f32_f64_e32 v2, v[0:1]
	s_mov_b32 s20, 0x47800000
	v_mov_b32_e32 v6, 0x80
	v_and_b32_e32 v3, 0x7fffffff, v2
	v_cmp_gt_u32_e32 vcc, s20, v3
	s_and_saveexec_b64 s[20:21], vcc
	s_cbranch_execz .LBB8_351
; %bb.346:
	s_mov_b32 s24, 0x37ffffff
	v_cmp_lt_u32_e32 vcc, s24, v3
	s_mov_b64 s[24:25], 0
                                        ; implicit-def: $vgpr3
	s_and_saveexec_b64 s[26:27], vcc
	s_xor_b64 s[26:27], exec, s[26:27]
	s_cbranch_execz .LBB8_553
; %bb.347:
	v_bfe_u32 v3, v2, 21, 1
	s_mov_b32 s30, 0x88fffff
	v_add3_u32 v3, v2, v3, s30
	s_mov_b64 s[24:25], exec
	v_lshrrev_b32_e32 v3, 21, v3
	s_andn2_saveexec_b64 s[26:27], s[26:27]
	s_cbranch_execnz .LBB8_554
.LBB8_348:
	s_or_b64 exec, exec, s[26:27]
	v_mov_b32_e32 v6, 0
	s_and_saveexec_b64 s[26:27], s[24:25]
.LBB8_349:
	v_lshrrev_b32_e32 v2, 24, v2
	s_movk_i32 s24, 0x80
	v_and_or_b32 v6, v2, s24, v3
.LBB8_350:
	s_or_b64 exec, exec, s[26:27]
.LBB8_351:
	s_or_b64 exec, exec, s[20:21]
	s_mov_b64 s[20:21], 0
	global_store_byte v[4:5], v6, off
.LBB8_352:
	s_and_b64 vcc, exec, s[20:21]
	s_cbranch_vccz .LBB8_362
; %bb.353:
	v_cvt_f32_f64_e32 v2, v[0:1]
	s_mov_b32 s20, 0x43f00000
                                        ; implicit-def: $vgpr3
	v_and_b32_e32 v6, 0x7fffffff, v2
	v_cmp_gt_u32_e32 vcc, s20, v6
	s_and_saveexec_b64 s[20:21], vcc
	s_xor_b64 s[20:21], exec, s[20:21]
	s_cbranch_execz .LBB8_359
; %bb.354:
	s_mov_b32 s24, 0x3c7fffff
	v_cmp_lt_u32_e32 vcc, s24, v6
                                        ; implicit-def: $vgpr3
	s_and_saveexec_b64 s[24:25], vcc
	s_xor_b64 s[24:25], exec, s[24:25]
; %bb.355:
	v_bfe_u32 v3, v2, 20, 1
	s_mov_b32 s26, 0x407ffff
	v_add3_u32 v3, v2, v3, s26
	v_lshrrev_b32_e32 v6, 20, v3
	v_and_b32_e32 v3, 0xff00000, v3
	s_mov_b32 s26, 0x7f00000
	v_mov_b32_e32 v7, 0x7e
	v_cmp_ne_u32_e32 vcc, s26, v3
	v_cndmask_b32_e32 v3, v7, v6, vcc
; %bb.356:
	s_andn2_saveexec_b64 s[24:25], s[24:25]
; %bb.357:
	s_mov_b32 s26, 0x46800000
	v_add_f32_e64 v3, |v2|, s26
; %bb.358:
	s_or_b64 exec, exec, s[24:25]
                                        ; implicit-def: $vgpr6
.LBB8_359:
	s_andn2_saveexec_b64 s[20:21], s[20:21]
; %bb.360:
	s_mov_b32 s24, 0x7f800000
	v_mov_b32_e32 v3, 0x7e
	v_mov_b32_e32 v7, 0x7f
	v_cmp_lt_u32_e32 vcc, s24, v6
	v_cndmask_b32_e32 v3, v3, v7, vcc
; %bb.361:
	s_or_b64 exec, exec, s[20:21]
	v_lshrrev_b32_e32 v2, 24, v2
	s_movk_i32 s20, 0x80
	v_and_or_b32 v2, v2, s20, v3
	global_store_byte v[4:5], v2, off
.LBB8_362:
	s_mov_b64 s[20:21], 0
.LBB8_363:
	s_andn2_b64 vcc, exec, s[20:21]
	s_cbranch_vccnz .LBB8_373
; %bb.364:
	v_cvt_f32_f64_e32 v2, v[0:1]
	s_mov_b32 s20, 0x47800000
                                        ; implicit-def: $vgpr3
	v_and_b32_e32 v6, 0x7fffffff, v2
	v_cmp_gt_u32_e32 vcc, s20, v6
	s_and_saveexec_b64 s[20:21], vcc
	s_xor_b64 s[20:21], exec, s[20:21]
	s_cbranch_execz .LBB8_370
; %bb.365:
	s_mov_b32 s24, 0x387fffff
	v_cmp_lt_u32_e32 vcc, s24, v6
                                        ; implicit-def: $vgpr3
	s_and_saveexec_b64 s[24:25], vcc
	s_xor_b64 s[24:25], exec, s[24:25]
; %bb.366:
	v_bfe_u32 v3, v2, 21, 1
	s_mov_b32 s26, 0x80fffff
	v_add3_u32 v3, v2, v3, s26
	v_lshrrev_b32_e32 v3, 21, v3
; %bb.367:
	s_andn2_saveexec_b64 s[24:25], s[24:25]
; %bb.368:
	s_mov_b32 s26, 0x43000000
	v_add_f32_e64 v3, |v2|, s26
; %bb.369:
	s_or_b64 exec, exec, s[24:25]
                                        ; implicit-def: $vgpr6
.LBB8_370:
	s_andn2_saveexec_b64 s[20:21], s[20:21]
; %bb.371:
	s_mov_b32 s24, 0x7f800000
	v_mov_b32_e32 v3, 0x7c
	v_mov_b32_e32 v7, 0x7f
	v_cmp_lt_u32_e32 vcc, s24, v6
	v_cndmask_b32_e32 v3, v3, v7, vcc
; %bb.372:
	s_or_b64 exec, exec, s[20:21]
	v_lshrrev_b32_e32 v2, 24, v2
	s_movk_i32 s20, 0x80
	v_and_or_b32 v2, v2, s20, v3
	global_store_byte v[4:5], v2, off
.LBB8_373:
	s_mov_b64 s[24:25], 0
	s_mov_b64 s[20:21], -1
.LBB8_374:
	s_andn2_b64 vcc, exec, s[24:25]
	s_cbranch_vccnz .LBB8_382
; %bb.375:
	s_cmp_gt_i32 s29, 14
	s_mov_b64 s[24:25], -1
	s_cbranch_scc0 .LBB8_379
; %bb.376:
	s_cmp_eq_u32 s29, 15
	s_mov_b64 s[0:1], -1
	s_cbranch_scc0 .LBB8_378
; %bb.377:
	v_cvt_f32_f64_e32 v2, v[0:1]
	s_movk_i32 s0, 0x7fff
	v_mov_b32_e32 v3, 0x7fc0
	s_mov_b64 s[20:21], -1
	v_bfe_u32 v6, v2, 16, 1
	v_cmp_o_f32_e32 vcc, v2, v2
	v_add3_u32 v2, v2, v6, s0
	v_cndmask_b32_sdwa v2, v3, v2, vcc dst_sel:DWORD dst_unused:UNUSED_PAD src0_sel:DWORD src1_sel:WORD_1
	global_store_short v[4:5], v2, off
	s_mov_b64 s[0:1], 0
.LBB8_378:
	s_mov_b64 s[24:25], 0
.LBB8_379:
	s_and_b64 vcc, exec, s[24:25]
	s_cbranch_vccz .LBB8_382
; %bb.380:
	s_cmp_eq_u32 s29, 11
	s_mov_b64 s[0:1], -1
	s_cbranch_scc0 .LBB8_382
; %bb.381:
	v_cmp_neq_f64_e32 vcc, 0, v[0:1]
	s_mov_b64 s[0:1], 0
	s_mov_b64 s[20:21], -1
	v_cndmask_b32_e64 v2, 0, 1, vcc
	global_store_byte v[4:5], v2, off
.LBB8_382:
	s_mov_b64 s[24:25], 0
.LBB8_383:
	s_and_b64 vcc, exec, s[24:25]
	s_cbranch_vccz .LBB8_422
; %bb.384:
	s_and_b32 s24, 0xffff, s28
	s_cmp_lt_i32 s24, 5
	s_mov_b64 s[20:21], -1
	s_cbranch_scc1 .LBB8_405
; %bb.385:
	s_cmp_lt_i32 s24, 8
	s_cbranch_scc1 .LBB8_395
; %bb.386:
	s_cmp_lt_i32 s24, 9
	s_cbranch_scc1 .LBB8_392
; %bb.387:
	s_cmp_gt_i32 s24, 9
	s_cbranch_scc0 .LBB8_389
; %bb.388:
	v_mov_b32_e32 v2, 0
	v_mov_b32_e32 v3, v2
	s_mov_b64 s[20:21], 0
	global_store_dwordx4 v[4:5], v[0:3], off
.LBB8_389:
	s_andn2_b64 vcc, exec, s[20:21]
	s_cbranch_vccnz .LBB8_391
; %bb.390:
	v_cvt_f32_f64_e32 v2, v[0:1]
	v_mov_b32_e32 v3, 0
	global_store_dwordx2 v[4:5], v[2:3], off
.LBB8_391:
	s_mov_b64 s[20:21], 0
.LBB8_392:
	s_andn2_b64 vcc, exec, s[20:21]
	s_cbranch_vccnz .LBB8_394
; %bb.393:
	s_movk_i32 s20, 0x1ff
	v_and_or_b32 v2, v1, s20, v0
	v_cmp_ne_u32_e32 vcc, 0, v2
	v_cndmask_b32_e64 v2, 0, 1, vcc
	v_lshrrev_b32_e32 v3, 8, v1
	s_movk_i32 s20, 0xffe
	v_bfe_u32 v6, v1, 20, 11
	v_and_or_b32 v2, v3, s20, v2
	v_sub_u32_e32 v7, 0x3f1, v6
	v_or_b32_e32 v3, 0x1000, v2
	v_med3_i32 v7, v7, 0, 13
	v_lshrrev_b32_e32 v8, v7, v3
	v_lshlrev_b32_e32 v7, v7, v8
	v_cmp_ne_u32_e32 vcc, v7, v3
	v_cndmask_b32_e64 v3, 0, 1, vcc
	v_add_u32_e32 v6, 0xfffffc10, v6
	v_or_b32_e32 v3, v8, v3
	v_lshl_or_b32 v7, v6, 12, v2
	v_cmp_gt_i32_e32 vcc, 1, v6
	v_cndmask_b32_e32 v3, v7, v3, vcc
	v_and_b32_e32 v7, 7, v3
	v_cmp_lt_i32_e32 vcc, 5, v7
	v_cndmask_b32_e64 v8, 0, 1, vcc
	v_cmp_eq_u32_e32 vcc, 3, v7
	v_cndmask_b32_e64 v7, 0, 1, vcc
	v_or_b32_e32 v7, v7, v8
	v_lshrrev_b32_e32 v3, 2, v3
	v_add_u32_e32 v3, v3, v7
	v_mov_b32_e32 v7, 0x7c00
	v_cmp_gt_i32_e32 vcc, 31, v6
	v_cndmask_b32_e32 v3, v7, v3, vcc
	v_mov_b32_e32 v8, 0x7e00
	v_cmp_ne_u32_e32 vcc, 0, v2
	s_movk_i32 s20, 0x40f
	v_cndmask_b32_e32 v2, v7, v8, vcc
	v_cmp_eq_u32_e32 vcc, s20, v6
	v_cndmask_b32_e32 v2, v3, v2, vcc
	v_lshrrev_b32_e32 v3, 16, v1
	s_mov_b32 s20, 0x8000
	v_and_or_b32 v2, v3, s20, v2
	v_and_b32_e32 v2, 0xffff, v2
	global_store_dword v[4:5], v2, off
.LBB8_394:
	s_mov_b64 s[20:21], 0
.LBB8_395:
	s_andn2_b64 vcc, exec, s[20:21]
	s_cbranch_vccnz .LBB8_404
; %bb.396:
	s_cmp_lt_i32 s24, 6
	s_mov_b64 s[20:21], -1
	s_cbranch_scc1 .LBB8_402
; %bb.397:
	s_cmp_gt_i32 s24, 6
	s_cbranch_scc0 .LBB8_399
; %bb.398:
	s_mov_b64 s[20:21], 0
	global_store_dwordx2 v[4:5], v[0:1], off
.LBB8_399:
	s_andn2_b64 vcc, exec, s[20:21]
	s_cbranch_vccnz .LBB8_401
; %bb.400:
	v_cvt_f32_f64_e32 v2, v[0:1]
	global_store_dword v[4:5], v2, off
.LBB8_401:
	s_mov_b64 s[20:21], 0
.LBB8_402:
	s_andn2_b64 vcc, exec, s[20:21]
	s_cbranch_vccnz .LBB8_404
; %bb.403:
	s_movk_i32 s20, 0x1ff
	v_and_or_b32 v2, v1, s20, v0
	v_cmp_ne_u32_e32 vcc, 0, v2
	v_cndmask_b32_e64 v2, 0, 1, vcc
	v_lshrrev_b32_e32 v3, 8, v1
	s_movk_i32 s20, 0xffe
	v_bfe_u32 v6, v1, 20, 11
	v_and_or_b32 v2, v3, s20, v2
	v_sub_u32_e32 v7, 0x3f1, v6
	v_or_b32_e32 v3, 0x1000, v2
	v_med3_i32 v7, v7, 0, 13
	v_lshrrev_b32_e32 v8, v7, v3
	v_lshlrev_b32_e32 v7, v7, v8
	v_cmp_ne_u32_e32 vcc, v7, v3
	v_cndmask_b32_e64 v3, 0, 1, vcc
	v_add_u32_e32 v6, 0xfffffc10, v6
	v_or_b32_e32 v3, v8, v3
	v_lshl_or_b32 v7, v6, 12, v2
	v_cmp_gt_i32_e32 vcc, 1, v6
	v_cndmask_b32_e32 v3, v7, v3, vcc
	v_and_b32_e32 v7, 7, v3
	v_cmp_lt_i32_e32 vcc, 5, v7
	v_cndmask_b32_e64 v8, 0, 1, vcc
	v_cmp_eq_u32_e32 vcc, 3, v7
	v_cndmask_b32_e64 v7, 0, 1, vcc
	v_or_b32_e32 v7, v7, v8
	v_lshrrev_b32_e32 v3, 2, v3
	v_add_u32_e32 v3, v3, v7
	v_mov_b32_e32 v7, 0x7c00
	v_cmp_gt_i32_e32 vcc, 31, v6
	v_cndmask_b32_e32 v3, v7, v3, vcc
	v_mov_b32_e32 v8, 0x7e00
	v_cmp_ne_u32_e32 vcc, 0, v2
	s_movk_i32 s20, 0x40f
	v_cndmask_b32_e32 v2, v7, v8, vcc
	v_cmp_eq_u32_e32 vcc, s20, v6
	v_cndmask_b32_e32 v2, v3, v2, vcc
	v_lshrrev_b32_e32 v3, 16, v1
	s_mov_b32 s20, 0x8000
	v_and_or_b32 v2, v3, s20, v2
	global_store_short v[4:5], v2, off
.LBB8_404:
	s_mov_b64 s[20:21], 0
.LBB8_405:
	s_andn2_b64 vcc, exec, s[20:21]
	s_cbranch_vccnz .LBB8_421
; %bb.406:
	s_cmp_lt_i32 s24, 2
	s_mov_b64 s[20:21], -1
	s_cbranch_scc1 .LBB8_416
; %bb.407:
	s_cmp_lt_i32 s24, 3
	s_cbranch_scc1 .LBB8_413
; %bb.408:
	s_cmp_gt_i32 s24, 3
	s_cbranch_scc0 .LBB8_410
; %bb.409:
	v_trunc_f64_e32 v[2:3], v[0:1]
	s_movk_i32 s20, 0xffe0
	v_ldexp_f64 v[6:7], v[2:3], s20
	s_mov_b32 s20, 0
	s_mov_b32 s21, 0xc1f00000
	v_floor_f64_e32 v[6:7], v[6:7]
	v_fma_f64 v[2:3], v[6:7], s[20:21], v[2:3]
	v_cvt_i32_f64_e32 v7, v[6:7]
	s_mov_b64 s[20:21], 0
	v_cvt_u32_f64_e32 v6, v[2:3]
	global_store_dwordx2 v[4:5], v[6:7], off
.LBB8_410:
	s_andn2_b64 vcc, exec, s[20:21]
	s_cbranch_vccnz .LBB8_412
; %bb.411:
	v_cvt_i32_f64_e32 v2, v[0:1]
	global_store_dword v[4:5], v2, off
.LBB8_412:
	s_mov_b64 s[20:21], 0
.LBB8_413:
	s_andn2_b64 vcc, exec, s[20:21]
	s_cbranch_vccnz .LBB8_415
; %bb.414:
	v_cvt_i32_f64_e32 v2, v[0:1]
	global_store_short v[4:5], v2, off
.LBB8_415:
	s_mov_b64 s[20:21], 0
.LBB8_416:
	s_andn2_b64 vcc, exec, s[20:21]
	s_cbranch_vccnz .LBB8_421
; %bb.417:
	s_cmp_gt_i32 s24, 0
	s_mov_b64 s[20:21], -1
	s_cbranch_scc0 .LBB8_419
; %bb.418:
	v_cvt_i32_f64_e32 v2, v[0:1]
	s_mov_b64 s[20:21], 0
	global_store_byte v[4:5], v2, off
.LBB8_419:
	s_andn2_b64 vcc, exec, s[20:21]
	s_cbranch_vccnz .LBB8_421
; %bb.420:
	v_trunc_f64_e32 v[0:1], v[0:1]
	s_movk_i32 s20, 0xffe0
	v_ldexp_f64 v[2:3], v[0:1], s20
	s_mov_b32 s20, 0
	s_mov_b32 s21, 0xc1f00000
	v_floor_f64_e32 v[2:3], v[2:3]
	v_fma_f64 v[0:1], v[2:3], s[20:21], v[0:1]
	v_cvt_u32_f64_e32 v0, v[0:1]
	global_store_byte v[4:5], v0, off
.LBB8_421:
	s_mov_b64 s[20:21], -1
.LBB8_422:
	s_andn2_b64 vcc, exec, s[20:21]
	s_cbranch_vccnz .LBB8_424
; %bb.423:
	v_add_u32_e32 v14, 0x80, v14
	s_mov_b64 s[24:25], -1
	s_branch .LBB8_536
.LBB8_424:
	s_mov_b64 s[24:25], 0
                                        ; implicit-def: $vgpr14
	s_branch .LBB8_536
.LBB8_425:
	s_mov_b64 s[18:19], -1
                                        ; implicit-def: $vgpr2_vgpr3
.LBB8_426:
	s_mov_b64 s[20:21], 0
.LBB8_427:
	s_and_b64 vcc, exec, s[20:21]
	s_cbranch_vccz .LBB8_431
; %bb.428:
	s_cmp_eq_u32 s26, 29
	s_cbranch_scc0 .LBB8_430
; %bb.429:
	global_load_dwordx2 v[2:3], v[0:1], off
	s_mov_b64 s[0:1], -1
	s_mov_b64 s[18:19], 0
	s_mov_b64 s[20:21], 0
	s_waitcnt vmcnt(0)
	v_cvt_f64_u32_e32 v[3:4], v3
	v_cvt_f64_u32_e32 v[5:6], v2
	v_ldexp_f64 v[3:4], v[3:4], 32
	v_add_f64 v[2:3], v[3:4], v[5:6]
	s_branch .LBB8_432
.LBB8_430:
	s_mov_b64 s[18:19], -1
                                        ; implicit-def: $vgpr2_vgpr3
.LBB8_431:
	s_mov_b64 s[20:21], 0
.LBB8_432:
	s_and_b64 vcc, exec, s[20:21]
	s_cbranch_vccz .LBB8_452
; %bb.433:
	s_cmp_lt_i32 s26, 27
	s_cbranch_scc1 .LBB8_436
; %bb.434:
	s_cmp_gt_i32 s26, 27
	s_cbranch_scc0 .LBB8_437
; %bb.435:
	global_load_dword v2, v[0:1], off
	s_mov_b64 s[0:1], 0
	s_waitcnt vmcnt(0)
	v_cvt_f64_u32_e32 v[2:3], v2
	s_branch .LBB8_438
.LBB8_436:
	s_mov_b64 s[0:1], -1
                                        ; implicit-def: $vgpr2_vgpr3
	s_branch .LBB8_441
.LBB8_437:
	s_mov_b64 s[0:1], -1
                                        ; implicit-def: $vgpr2_vgpr3
.LBB8_438:
	s_andn2_b64 vcc, exec, s[0:1]
	s_cbranch_vccnz .LBB8_440
; %bb.439:
	global_load_ushort v2, v[0:1], off
	s_waitcnt vmcnt(0)
	v_cvt_f64_u32_e32 v[2:3], v2
.LBB8_440:
	s_mov_b64 s[0:1], 0
.LBB8_441:
	s_andn2_b64 vcc, exec, s[0:1]
	s_cbranch_vccnz .LBB8_451
; %bb.442:
	global_load_ubyte v4, v[0:1], off
	s_movk_i32 s0, 0x7f
	s_waitcnt vmcnt(0)
	v_cmp_lt_i16_e32 vcc, s0, v4
	s_mov_b64 s[0:1], 0
	s_and_saveexec_b64 s[20:21], vcc
	s_xor_b64 s[20:21], exec, s[20:21]
	s_cbranch_execz .LBB8_446
; %bb.443:
	s_movk_i32 s0, 0x80
	v_cmp_eq_u16_e32 vcc, s0, v4
	s_mov_b64 s[0:1], -1
	s_and_saveexec_b64 s[24:25], vcc
; %bb.444:
	s_xor_b64 s[0:1], exec, -1
; %bb.445:
	s_or_b64 exec, exec, s[24:25]
	s_and_b64 s[0:1], s[0:1], exec
.LBB8_446:
	s_or_saveexec_b64 s[20:21], s[20:21]
	v_bfrev_b32_e32 v2, 4
	v_mov_b32_e32 v3, 0x7ff80000
	s_xor_b64 exec, exec, s[20:21]
; %bb.447:
	v_cmp_ne_u16_e32 vcc, 0, v4
	v_mov_b32_e32 v2, 0
	s_andn2_b64 s[0:1], s[0:1], exec
	s_and_b64 s[24:25], vcc, exec
	v_mov_b32_e32 v3, 0
	s_or_b64 s[0:1], s[0:1], s[24:25]
; %bb.448:
	s_or_b64 exec, exec, s[20:21]
	s_and_saveexec_b64 s[20:21], s[0:1]
	s_cbranch_execz .LBB8_450
; %bb.449:
	v_and_b32_e32 v3, 0xffff, v4
	v_lshlrev_b32_e32 v2, 24, v4
	v_and_b32_e32 v4, 7, v3
	v_ffbh_u32_e32 v6, v4
	v_min_u32_e32 v6, 32, v6
	v_subrev_u32_e32 v7, 28, v6
	v_bfe_u32 v5, v3, 3, 4
	v_lshlrev_b32_e32 v3, v7, v3
	v_sub_u32_e32 v6, 29, v6
	v_and_b32_e32 v3, 7, v3
	v_cmp_eq_u32_e32 vcc, 0, v5
	v_cndmask_b32_e32 v5, v5, v6, vcc
	v_cndmask_b32_e32 v3, v4, v3, vcc
	v_mov_b32_e32 v4, 0x3b800000
	v_lshlrev_b32_e32 v3, 20, v3
	v_and_b32_e32 v2, 0x80000000, v2
	v_lshl_add_u32 v4, v5, 23, v4
	v_or3_b32 v2, v2, v4, v3
	v_cvt_f64_f32_e32 v[2:3], v2
.LBB8_450:
	s_or_b64 exec, exec, s[20:21]
.LBB8_451:
	s_mov_b64 s[0:1], -1
.LBB8_452:
	s_mov_b64 s[20:21], 0
.LBB8_453:
	s_and_b64 vcc, exec, s[20:21]
	s_cbranch_vccz .LBB8_486
; %bb.454:
	s_cmp_gt_i32 s26, 22
	s_cbranch_scc0 .LBB8_466
; %bb.455:
	s_cmp_lt_i32 s26, 24
	s_cbranch_scc1 .LBB8_467
; %bb.456:
	s_cmp_gt_i32 s26, 24
	s_cbranch_scc0 .LBB8_468
; %bb.457:
	global_load_ubyte v4, v[0:1], off
	s_movk_i32 s0, 0x7f
	s_waitcnt vmcnt(0)
	v_cmp_lt_i16_e32 vcc, s0, v4
	s_mov_b64 s[0:1], 0
	s_and_saveexec_b64 s[20:21], vcc
	s_xor_b64 s[20:21], exec, s[20:21]
	s_cbranch_execz .LBB8_461
; %bb.458:
	s_movk_i32 s0, 0x80
	v_cmp_eq_u16_e32 vcc, s0, v4
	s_mov_b64 s[0:1], -1
	s_and_saveexec_b64 s[24:25], vcc
; %bb.459:
	s_xor_b64 s[0:1], exec, -1
; %bb.460:
	s_or_b64 exec, exec, s[24:25]
	s_and_b64 s[0:1], s[0:1], exec
.LBB8_461:
	s_or_saveexec_b64 s[20:21], s[20:21]
	v_bfrev_b32_e32 v2, 4
	v_mov_b32_e32 v3, 0x7ff80000
	s_xor_b64 exec, exec, s[20:21]
; %bb.462:
	v_cmp_ne_u16_e32 vcc, 0, v4
	v_mov_b32_e32 v2, 0
	s_andn2_b64 s[0:1], s[0:1], exec
	s_and_b64 s[24:25], vcc, exec
	v_mov_b32_e32 v3, 0
	s_or_b64 s[0:1], s[0:1], s[24:25]
; %bb.463:
	s_or_b64 exec, exec, s[20:21]
	s_and_saveexec_b64 s[20:21], s[0:1]
	s_cbranch_execz .LBB8_465
; %bb.464:
	v_and_b32_e32 v3, 0xffff, v4
	v_lshlrev_b32_e32 v2, 24, v4
	v_and_b32_e32 v4, 3, v3
	v_ffbh_u32_e32 v6, v4
	v_min_u32_e32 v6, 32, v6
	v_subrev_u32_e32 v7, 29, v6
	v_bfe_u32 v5, v3, 2, 5
	v_lshlrev_b32_e32 v3, v7, v3
	v_sub_u32_e32 v6, 30, v6
	v_and_b32_e32 v3, 3, v3
	v_cmp_eq_u32_e32 vcc, 0, v5
	v_cndmask_b32_e32 v5, v5, v6, vcc
	v_cndmask_b32_e32 v3, v4, v3, vcc
	v_mov_b32_e32 v4, 0x37800000
	v_lshlrev_b32_e32 v3, 21, v3
	v_and_b32_e32 v2, 0x80000000, v2
	v_lshl_add_u32 v4, v5, 23, v4
	v_or3_b32 v2, v2, v4, v3
	v_cvt_f64_f32_e32 v[2:3], v2
.LBB8_465:
	s_or_b64 exec, exec, s[20:21]
	s_mov_b64 s[0:1], 0
	s_branch .LBB8_469
.LBB8_466:
	s_mov_b64 s[20:21], -1
                                        ; implicit-def: $vgpr2_vgpr3
	s_branch .LBB8_475
.LBB8_467:
	s_mov_b64 s[0:1], -1
                                        ; implicit-def: $vgpr2_vgpr3
	s_branch .LBB8_472
.LBB8_468:
	s_mov_b64 s[0:1], -1
                                        ; implicit-def: $vgpr2_vgpr3
.LBB8_469:
	s_and_b64 vcc, exec, s[0:1]
	s_cbranch_vccz .LBB8_471
; %bb.470:
	global_load_ubyte v2, v[0:1], off
	s_mov_b32 s0, 0x7f800000
	s_waitcnt vmcnt(0)
	v_lshlrev_b32_e32 v2, 24, v2
	v_and_b32_e32 v3, 0x7f000000, v2
	v_ffbh_u32_e32 v4, v3
	v_min_u32_e32 v4, 32, v4
	v_sub_u32_e64 v4, v4, 4 clamp
	v_lshlrev_b32_e32 v6, v4, v3
	v_lshlrev_b32_e32 v4, 23, v4
	v_lshrrev_b32_e32 v6, 4, v6
	v_add_u32_e32 v5, 0x1000000, v3
	v_sub_u32_e32 v4, v6, v4
	v_ashrrev_i32_e32 v5, 8, v5
	v_add_u32_e32 v4, 0x3c000000, v4
	v_and_or_b32 v4, v5, s0, v4
	v_cmp_ne_u32_e32 vcc, 0, v3
	v_cndmask_b32_e32 v3, 0, v4, vcc
	s_brev_b32 s0, 1
	v_and_or_b32 v2, v2, s0, v3
	v_cvt_f64_f32_e32 v[2:3], v2
.LBB8_471:
	s_mov_b64 s[0:1], 0
.LBB8_472:
	s_andn2_b64 vcc, exec, s[0:1]
	s_cbranch_vccnz .LBB8_474
; %bb.473:
	global_load_ubyte v2, v[0:1], off
	s_movk_i32 s0, 0x7f00
	s_brev_b32 s1, 16
	s_waitcnt vmcnt(0)
	v_lshlrev_b16_e32 v3, 8, v2
	v_lshlrev_b32_e32 v2, 25, v2
	v_lshrrev_b32_e32 v4, 4, v2
	v_and_or_b32 v5, v3, s0, 0.5
	v_or_b32_e32 v4, 0x70000000, v4
	v_add_f32_e32 v5, -0.5, v5
	v_mul_f32_e32 v4, 0x7800000, v4
	v_cmp_gt_u32_e32 vcc, s1, v2
	v_bfe_i32 v3, v3, 0, 16
	v_cndmask_b32_e32 v2, v4, v5, vcc
	s_brev_b32 s0, 1
	v_and_or_b32 v2, v3, s0, v2
	v_cvt_f64_f32_e32 v[2:3], v2
.LBB8_474:
	s_mov_b64 s[20:21], 0
	s_mov_b64 s[0:1], -1
.LBB8_475:
	s_andn2_b64 vcc, exec, s[20:21]
	s_cbranch_vccnz .LBB8_486
; %bb.476:
	s_cmp_gt_i32 s26, 14
	s_cbranch_scc0 .LBB8_479
; %bb.477:
	s_cmp_eq_u32 s26, 15
	s_cbranch_scc0 .LBB8_480
; %bb.478:
	global_load_ushort v2, v[0:1], off
	s_mov_b64 s[0:1], -1
	s_mov_b64 s[18:19], 0
	s_waitcnt vmcnt(0)
	v_lshlrev_b32_e32 v2, 16, v2
	v_cvt_f64_f32_e32 v[2:3], v2
	s_branch .LBB8_481
.LBB8_479:
	s_mov_b64 s[20:21], -1
                                        ; implicit-def: $vgpr2_vgpr3
	s_branch .LBB8_482
.LBB8_480:
	s_mov_b64 s[18:19], -1
                                        ; implicit-def: $vgpr2_vgpr3
.LBB8_481:
	s_mov_b64 s[20:21], 0
.LBB8_482:
	s_and_b64 vcc, exec, s[20:21]
	s_cbranch_vccz .LBB8_486
; %bb.483:
	s_cmp_eq_u32 s26, 11
	s_cbranch_scc0 .LBB8_485
; %bb.484:
	global_load_ubyte v3, v[0:1], off
	v_mov_b32_e32 v4, 0x3ff00000
	v_mov_b32_e32 v2, 0
	s_mov_b64 s[0:1], -1
	s_mov_b64 s[18:19], 0
	s_waitcnt vmcnt(0)
	v_cmp_ne_u16_e32 vcc, 0, v3
	v_cndmask_b32_e32 v3, 0, v4, vcc
	s_branch .LBB8_486
.LBB8_485:
	s_mov_b64 s[18:19], -1
                                        ; implicit-def: $vgpr2_vgpr3
.LBB8_486:
	s_branch .LBB8_277
.LBB8_487:
	s_cmp_lt_i32 s26, 5
	s_cbranch_scc1 .LBB8_492
; %bb.488:
	s_cmp_lt_i32 s26, 8
	s_cbranch_scc1 .LBB8_493
; %bb.489:
	;; [unrolled: 3-line block ×3, first 2 shown]
	s_cmp_gt_i32 s26, 9
	s_cbranch_scc0 .LBB8_495
; %bb.491:
	global_load_dwordx2 v[2:3], v[0:1], off
	s_mov_b64 s[0:1], 0
	s_branch .LBB8_496
.LBB8_492:
	s_mov_b64 s[0:1], -1
                                        ; implicit-def: $vgpr2_vgpr3
	s_branch .LBB8_514
.LBB8_493:
	s_mov_b64 s[0:1], -1
                                        ; implicit-def: $vgpr2_vgpr3
	s_branch .LBB8_502
.LBB8_494:
	s_mov_b64 s[0:1], -1
                                        ; implicit-def: $vgpr2_vgpr3
	s_branch .LBB8_499
.LBB8_495:
	s_mov_b64 s[0:1], -1
                                        ; implicit-def: $vgpr2_vgpr3
.LBB8_496:
	s_andn2_b64 vcc, exec, s[0:1]
	s_cbranch_vccnz .LBB8_498
; %bb.497:
	global_load_dword v2, v[0:1], off
	s_waitcnt vmcnt(0)
	v_cvt_f64_f32_e32 v[2:3], v2
.LBB8_498:
	s_mov_b64 s[0:1], 0
.LBB8_499:
	s_andn2_b64 vcc, exec, s[0:1]
	s_cbranch_vccnz .LBB8_501
; %bb.500:
	global_load_dword v2, v[0:1], off
	s_waitcnt vmcnt(0)
	v_cvt_f32_f16_e32 v2, v2
	v_cvt_f64_f32_e32 v[2:3], v2
.LBB8_501:
	s_mov_b64 s[0:1], 0
.LBB8_502:
	s_andn2_b64 vcc, exec, s[0:1]
	s_cbranch_vccnz .LBB8_513
; %bb.503:
	s_cmp_lt_i32 s26, 6
	s_cbranch_scc1 .LBB8_506
; %bb.504:
	s_cmp_gt_i32 s26, 6
	s_cbranch_scc0 .LBB8_507
; %bb.505:
	global_load_dwordx2 v[2:3], v[0:1], off
	s_mov_b64 s[0:1], 0
	s_branch .LBB8_508
.LBB8_506:
	s_mov_b64 s[0:1], -1
                                        ; implicit-def: $vgpr2_vgpr3
	s_branch .LBB8_511
.LBB8_507:
	s_mov_b64 s[0:1], -1
                                        ; implicit-def: $vgpr2_vgpr3
.LBB8_508:
	s_andn2_b64 vcc, exec, s[0:1]
	s_cbranch_vccnz .LBB8_510
; %bb.509:
	global_load_dword v2, v[0:1], off
	s_waitcnt vmcnt(0)
	v_cvt_f64_f32_e32 v[2:3], v2
.LBB8_510:
	s_mov_b64 s[0:1], 0
.LBB8_511:
	s_andn2_b64 vcc, exec, s[0:1]
	s_cbranch_vccnz .LBB8_513
; %bb.512:
	global_load_ushort v2, v[0:1], off
	s_waitcnt vmcnt(0)
	v_cvt_f32_f16_e32 v2, v2
	v_cvt_f64_f32_e32 v[2:3], v2
.LBB8_513:
	s_mov_b64 s[0:1], 0
.LBB8_514:
	s_andn2_b64 vcc, exec, s[0:1]
	s_cbranch_vccnz .LBB8_534
; %bb.515:
	s_cmp_lt_i32 s26, 2
	s_cbranch_scc1 .LBB8_519
; %bb.516:
	s_cmp_lt_i32 s26, 3
	s_cbranch_scc1 .LBB8_520
; %bb.517:
	s_cmp_gt_i32 s26, 3
	s_cbranch_scc0 .LBB8_521
; %bb.518:
	global_load_dwordx2 v[2:3], v[0:1], off
	s_mov_b64 s[0:1], 0
	s_waitcnt vmcnt(0)
	v_cvt_f64_i32_e32 v[3:4], v3
	v_cvt_f64_u32_e32 v[5:6], v2
	v_ldexp_f64 v[3:4], v[3:4], 32
	v_add_f64 v[2:3], v[3:4], v[5:6]
	s_branch .LBB8_522
.LBB8_519:
	s_mov_b64 s[0:1], -1
                                        ; implicit-def: $vgpr2_vgpr3
	s_branch .LBB8_528
.LBB8_520:
	s_mov_b64 s[0:1], -1
                                        ; implicit-def: $vgpr2_vgpr3
	s_branch .LBB8_525
.LBB8_521:
	s_mov_b64 s[0:1], -1
                                        ; implicit-def: $vgpr2_vgpr3
.LBB8_522:
	s_andn2_b64 vcc, exec, s[0:1]
	s_cbranch_vccnz .LBB8_524
; %bb.523:
	global_load_dword v2, v[0:1], off
	s_waitcnt vmcnt(0)
	v_cvt_f64_i32_e32 v[2:3], v2
.LBB8_524:
	s_mov_b64 s[0:1], 0
.LBB8_525:
	s_andn2_b64 vcc, exec, s[0:1]
	s_cbranch_vccnz .LBB8_527
; %bb.526:
	global_load_sshort v2, v[0:1], off
	s_waitcnt vmcnt(0)
	v_cvt_f64_i32_e32 v[2:3], v2
.LBB8_527:
	s_mov_b64 s[0:1], 0
.LBB8_528:
	s_andn2_b64 vcc, exec, s[0:1]
	s_cbranch_vccnz .LBB8_534
; %bb.529:
	s_cmp_gt_i32 s26, 0
	s_cbranch_scc0 .LBB8_531
; %bb.530:
	global_load_sbyte v2, v[0:1], off
	s_mov_b64 s[0:1], 0
	s_waitcnt vmcnt(0)
	v_cvt_f64_i32_e32 v[2:3], v2
	s_branch .LBB8_532
.LBB8_531:
	s_mov_b64 s[0:1], -1
                                        ; implicit-def: $vgpr2_vgpr3
.LBB8_532:
	s_andn2_b64 vcc, exec, s[0:1]
	s_cbranch_vccnz .LBB8_534
; %bb.533:
	global_load_ubyte v0, v[0:1], off
	s_waitcnt vmcnt(0)
	v_cvt_f64_u32_e32 v[2:3], v0
.LBB8_534:
	s_branch .LBB8_278
.LBB8_535:
	s_mov_b64 s[24:25], 0
                                        ; implicit-def: $vgpr14
	s_mov_b64 s[0:1], s[6:7]
.LBB8_536:
	s_andn2_b64 s[20:21], s[6:7], exec
	s_and_b64 s[0:1], s[0:1], exec
	s_or_b64 s[20:21], s[20:21], s[0:1]
	s_andn2_b64 s[0:1], s[14:15], exec
	s_and_b64 s[18:19], s[18:19], exec
	s_or_b64 s[18:19], s[0:1], s[18:19]
	s_orn2_b64 s[0:1], s[24:25], exec
.LBB8_537:
	s_or_b64 exec, exec, s[22:23]
	s_mov_b64 s[24:25], 0
	s_mov_b64 s[26:27], 0
	;; [unrolled: 1-line block ×3, first 2 shown]
                                        ; implicit-def: $vgpr0_vgpr1
                                        ; implicit-def: $vgpr2_vgpr3
	s_and_saveexec_b64 s[22:23], s[0:1]
	s_cbranch_execz .LBB8_894
; %bb.538:
	v_cmp_gt_i32_e32 vcc, s38, v14
	s_mov_b64 s[34:35], -1
	s_mov_b64 s[0:1], s[18:19]
	s_mov_b64 s[28:29], s[20:21]
	s_and_saveexec_b64 s[24:25], vcc
	s_cbranch_execz .LBB8_808
; %bb.539:
	v_mul_lo_u32 v0, v14, s3
	v_mov_b32_e32 v1, s11
	s_and_b32 s34, 0xffff, s42
	s_cmp_lt_i32 s34, 11
	s_waitcnt vmcnt(0)
	v_ashrrev_i32_e32 v2, 31, v0
	v_add_co_u32_e32 v0, vcc, s10, v0
	v_addc_co_u32_e32 v1, vcc, v1, v2, vcc
	s_cbranch_scc1 .LBB8_546
; %bb.540:
	s_cmp_gt_i32 s34, 25
	s_cbranch_scc0 .LBB8_547
; %bb.541:
	s_cmp_gt_i32 s34, 28
	s_cbranch_scc0 .LBB8_548
	;; [unrolled: 3-line block ×4, first 2 shown]
; %bb.544:
	s_cmp_eq_u32 s34, 46
	s_mov_b64 s[28:29], 0
	s_cbranch_scc0 .LBB8_555
; %bb.545:
	global_load_dword v2, v[0:1], off
	s_mov_b64 s[0:1], -1
	s_waitcnt vmcnt(0)
	v_lshlrev_b32_e32 v2, 16, v2
	v_cvt_f64_f32_e32 v[2:3], v2
	s_branch .LBB8_556
.LBB8_546:
	s_mov_b64 s[28:29], -1
	s_mov_b64 s[0:1], 0
                                        ; implicit-def: $vgpr2_vgpr3
	s_mov_b64 s[26:27], s[18:19]
	s_branch .LBB8_621
.LBB8_547:
	s_mov_b64 s[28:29], -1
	s_mov_b64 s[0:1], 0
	s_mov_b64 s[26:27], s[18:19]
                                        ; implicit-def: $vgpr2_vgpr3
	s_branch .LBB8_587
.LBB8_548:
	s_mov_b64 s[28:29], -1
	s_mov_b64 s[0:1], 0
	s_mov_b64 s[26:27], s[18:19]
                                        ; implicit-def: $vgpr2_vgpr3
	s_branch .LBB8_566
.LBB8_549:
	s_mov_b64 s[28:29], -1
	s_mov_b64 s[0:1], 0
	s_mov_b64 s[26:27], s[18:19]
                                        ; implicit-def: $vgpr2_vgpr3
	s_branch .LBB8_561
.LBB8_550:
	s_andn2_saveexec_b64 s[26:27], s[26:27]
	s_cbranch_execz .LBB8_335
.LBB8_551:
	s_mov_b32 s30, 0x46000000
	v_add_f32_e64 v3, |v2|, s30
	v_and_b32_e32 v3, 0xff, v3
	v_cmp_ne_u32_e32 vcc, 0, v3
	s_andn2_b64 s[24:25], s[24:25], exec
	s_and_b64 s[30:31], vcc, exec
	s_or_b64 s[24:25], s[24:25], s[30:31]
	s_or_b64 exec, exec, s[26:27]
	v_mov_b32_e32 v6, 0
	s_and_saveexec_b64 s[26:27], s[24:25]
	s_cbranch_execnz .LBB8_336
	s_branch .LBB8_337
.LBB8_552:
	s_mov_b64 s[28:29], -1
	s_mov_b64 s[0:1], 0
	s_mov_b64 s[26:27], s[18:19]
                                        ; implicit-def: $vgpr2_vgpr3
	s_branch .LBB8_556
.LBB8_553:
	s_andn2_saveexec_b64 s[26:27], s[26:27]
	s_cbranch_execz .LBB8_348
.LBB8_554:
	s_mov_b32 s30, 0x42800000
	v_add_f32_e64 v3, |v2|, s30
	v_and_b32_e32 v3, 0xff, v3
	v_cmp_ne_u32_e32 vcc, 0, v3
	s_andn2_b64 s[24:25], s[24:25], exec
	s_and_b64 s[30:31], vcc, exec
	s_or_b64 s[24:25], s[24:25], s[30:31]
	s_or_b64 exec, exec, s[26:27]
	v_mov_b32_e32 v6, 0
	s_and_saveexec_b64 s[26:27], s[24:25]
	s_cbranch_execnz .LBB8_349
	s_branch .LBB8_350
.LBB8_555:
	s_mov_b64 s[26:27], -1
                                        ; implicit-def: $vgpr2_vgpr3
	s_mov_b64 s[0:1], 0
.LBB8_556:
	s_and_b64 vcc, exec, s[28:29]
	s_cbranch_vccz .LBB8_560
; %bb.557:
	s_cmp_eq_u32 s34, 44
	s_cbranch_scc0 .LBB8_559
; %bb.558:
	global_load_ubyte v4, v[0:1], off
	s_movk_i32 s26, 0xff
	v_bfrev_b32_e32 v5, 4
	v_mov_b32_e32 v6, 0x7ff80000
	v_bfrev_b32_e32 v7, 28
	s_mov_b64 s[0:1], -1
	s_waitcnt vmcnt(0)
	v_lshlrev_b32_e32 v2, 23, v4
	v_cvt_f64_f32_e32 v[2:3], v2
	v_cmp_ne_u32_e32 vcc, s26, v4
	s_mov_b64 s[26:27], 0
	v_cndmask_b32_e32 v2, v5, v2, vcc
	v_cndmask_b32_e32 v3, v6, v3, vcc
	v_cmp_ne_u32_e32 vcc, 0, v4
	v_cndmask_b32_e32 v3, v7, v3, vcc
	v_cndmask_b32_e32 v2, 0, v2, vcc
	s_branch .LBB8_560
.LBB8_559:
	s_mov_b64 s[26:27], -1
                                        ; implicit-def: $vgpr2_vgpr3
.LBB8_560:
	s_mov_b64 s[28:29], 0
.LBB8_561:
	s_and_b64 vcc, exec, s[28:29]
	s_cbranch_vccz .LBB8_565
; %bb.562:
	s_cmp_eq_u32 s34, 29
	s_cbranch_scc0 .LBB8_564
; %bb.563:
	global_load_dwordx2 v[2:3], v[0:1], off
	s_mov_b64 s[0:1], -1
	s_mov_b64 s[26:27], 0
	s_mov_b64 s[28:29], 0
	s_waitcnt vmcnt(0)
	v_cvt_f64_u32_e32 v[3:4], v3
	v_cvt_f64_u32_e32 v[5:6], v2
	v_ldexp_f64 v[3:4], v[3:4], 32
	v_add_f64 v[2:3], v[3:4], v[5:6]
	s_branch .LBB8_566
.LBB8_564:
	s_mov_b64 s[26:27], -1
                                        ; implicit-def: $vgpr2_vgpr3
.LBB8_565:
	s_mov_b64 s[28:29], 0
.LBB8_566:
	s_and_b64 vcc, exec, s[28:29]
	s_cbranch_vccz .LBB8_586
; %bb.567:
	s_cmp_lt_i32 s34, 27
	s_cbranch_scc1 .LBB8_570
; %bb.568:
	s_cmp_gt_i32 s34, 27
	s_cbranch_scc0 .LBB8_571
; %bb.569:
	global_load_dword v2, v[0:1], off
	s_mov_b64 s[0:1], 0
	s_waitcnt vmcnt(0)
	v_cvt_f64_u32_e32 v[2:3], v2
	s_branch .LBB8_572
.LBB8_570:
	s_mov_b64 s[0:1], -1
                                        ; implicit-def: $vgpr2_vgpr3
	s_branch .LBB8_575
.LBB8_571:
	s_mov_b64 s[0:1], -1
                                        ; implicit-def: $vgpr2_vgpr3
.LBB8_572:
	s_andn2_b64 vcc, exec, s[0:1]
	s_cbranch_vccnz .LBB8_574
; %bb.573:
	global_load_ushort v2, v[0:1], off
	s_waitcnt vmcnt(0)
	v_cvt_f64_u32_e32 v[2:3], v2
.LBB8_574:
	s_mov_b64 s[0:1], 0
.LBB8_575:
	s_andn2_b64 vcc, exec, s[0:1]
	s_cbranch_vccnz .LBB8_585
; %bb.576:
	global_load_ubyte v4, v[0:1], off
	s_movk_i32 s0, 0x7f
	s_waitcnt vmcnt(0)
	v_cmp_lt_i16_e32 vcc, s0, v4
	s_mov_b64 s[0:1], 0
	s_and_saveexec_b64 s[28:29], vcc
	s_xor_b64 s[28:29], exec, s[28:29]
	s_cbranch_execz .LBB8_580
; %bb.577:
	s_movk_i32 s0, 0x80
	v_cmp_eq_u16_e32 vcc, s0, v4
	s_mov_b64 s[0:1], -1
	s_and_saveexec_b64 s[30:31], vcc
; %bb.578:
	s_xor_b64 s[0:1], exec, -1
; %bb.579:
	s_or_b64 exec, exec, s[30:31]
	s_and_b64 s[0:1], s[0:1], exec
.LBB8_580:
	s_or_saveexec_b64 s[28:29], s[28:29]
	v_bfrev_b32_e32 v2, 4
	v_mov_b32_e32 v3, 0x7ff80000
	s_xor_b64 exec, exec, s[28:29]
; %bb.581:
	v_cmp_ne_u16_e32 vcc, 0, v4
	v_mov_b32_e32 v2, 0
	s_andn2_b64 s[0:1], s[0:1], exec
	s_and_b64 s[30:31], vcc, exec
	v_mov_b32_e32 v3, 0
	s_or_b64 s[0:1], s[0:1], s[30:31]
; %bb.582:
	s_or_b64 exec, exec, s[28:29]
	s_and_saveexec_b64 s[28:29], s[0:1]
	s_cbranch_execz .LBB8_584
; %bb.583:
	v_and_b32_e32 v3, 0xffff, v4
	v_lshlrev_b32_e32 v2, 24, v4
	v_and_b32_e32 v4, 7, v3
	v_ffbh_u32_e32 v6, v4
	v_min_u32_e32 v6, 32, v6
	v_subrev_u32_e32 v7, 28, v6
	v_bfe_u32 v5, v3, 3, 4
	v_lshlrev_b32_e32 v3, v7, v3
	v_sub_u32_e32 v6, 29, v6
	v_and_b32_e32 v3, 7, v3
	v_cmp_eq_u32_e32 vcc, 0, v5
	v_cndmask_b32_e32 v5, v5, v6, vcc
	v_cndmask_b32_e32 v3, v4, v3, vcc
	v_mov_b32_e32 v4, 0x3b800000
	v_lshlrev_b32_e32 v3, 20, v3
	v_and_b32_e32 v2, 0x80000000, v2
	v_lshl_add_u32 v4, v5, 23, v4
	v_or3_b32 v2, v2, v4, v3
	v_cvt_f64_f32_e32 v[2:3], v2
.LBB8_584:
	s_or_b64 exec, exec, s[28:29]
.LBB8_585:
	s_mov_b64 s[0:1], -1
.LBB8_586:
	s_mov_b64 s[28:29], 0
.LBB8_587:
	s_and_b64 vcc, exec, s[28:29]
	s_cbranch_vccz .LBB8_620
; %bb.588:
	s_cmp_gt_i32 s34, 22
	s_cbranch_scc0 .LBB8_600
; %bb.589:
	s_cmp_lt_i32 s34, 24
	s_cbranch_scc1 .LBB8_601
; %bb.590:
	s_cmp_gt_i32 s34, 24
	s_cbranch_scc0 .LBB8_602
; %bb.591:
	global_load_ubyte v4, v[0:1], off
	s_movk_i32 s0, 0x7f
	s_waitcnt vmcnt(0)
	v_cmp_lt_i16_e32 vcc, s0, v4
	s_mov_b64 s[0:1], 0
	s_and_saveexec_b64 s[28:29], vcc
	s_xor_b64 s[28:29], exec, s[28:29]
	s_cbranch_execz .LBB8_595
; %bb.592:
	s_movk_i32 s0, 0x80
	v_cmp_eq_u16_e32 vcc, s0, v4
	s_mov_b64 s[0:1], -1
	s_and_saveexec_b64 s[30:31], vcc
; %bb.593:
	s_xor_b64 s[0:1], exec, -1
; %bb.594:
	s_or_b64 exec, exec, s[30:31]
	s_and_b64 s[0:1], s[0:1], exec
.LBB8_595:
	s_or_saveexec_b64 s[28:29], s[28:29]
	v_bfrev_b32_e32 v2, 4
	v_mov_b32_e32 v3, 0x7ff80000
	s_xor_b64 exec, exec, s[28:29]
; %bb.596:
	v_cmp_ne_u16_e32 vcc, 0, v4
	v_mov_b32_e32 v2, 0
	s_andn2_b64 s[0:1], s[0:1], exec
	s_and_b64 s[30:31], vcc, exec
	v_mov_b32_e32 v3, 0
	s_or_b64 s[0:1], s[0:1], s[30:31]
; %bb.597:
	s_or_b64 exec, exec, s[28:29]
	s_and_saveexec_b64 s[28:29], s[0:1]
	s_cbranch_execz .LBB8_599
; %bb.598:
	v_and_b32_e32 v3, 0xffff, v4
	v_lshlrev_b32_e32 v2, 24, v4
	v_and_b32_e32 v4, 3, v3
	v_ffbh_u32_e32 v6, v4
	v_min_u32_e32 v6, 32, v6
	v_subrev_u32_e32 v7, 29, v6
	v_bfe_u32 v5, v3, 2, 5
	v_lshlrev_b32_e32 v3, v7, v3
	v_sub_u32_e32 v6, 30, v6
	v_and_b32_e32 v3, 3, v3
	v_cmp_eq_u32_e32 vcc, 0, v5
	v_cndmask_b32_e32 v5, v5, v6, vcc
	v_cndmask_b32_e32 v3, v4, v3, vcc
	v_mov_b32_e32 v4, 0x37800000
	v_lshlrev_b32_e32 v3, 21, v3
	v_and_b32_e32 v2, 0x80000000, v2
	v_lshl_add_u32 v4, v5, 23, v4
	v_or3_b32 v2, v2, v4, v3
	v_cvt_f64_f32_e32 v[2:3], v2
.LBB8_599:
	s_or_b64 exec, exec, s[28:29]
	s_mov_b64 s[0:1], 0
	s_branch .LBB8_603
.LBB8_600:
	s_mov_b64 s[28:29], -1
                                        ; implicit-def: $vgpr2_vgpr3
	s_branch .LBB8_609
.LBB8_601:
	s_mov_b64 s[0:1], -1
                                        ; implicit-def: $vgpr2_vgpr3
	s_branch .LBB8_606
.LBB8_602:
	s_mov_b64 s[0:1], -1
                                        ; implicit-def: $vgpr2_vgpr3
.LBB8_603:
	s_and_b64 vcc, exec, s[0:1]
	s_cbranch_vccz .LBB8_605
; %bb.604:
	global_load_ubyte v2, v[0:1], off
	s_mov_b32 s0, 0x7f800000
	s_waitcnt vmcnt(0)
	v_lshlrev_b32_e32 v2, 24, v2
	v_and_b32_e32 v3, 0x7f000000, v2
	v_ffbh_u32_e32 v4, v3
	v_min_u32_e32 v4, 32, v4
	v_sub_u32_e64 v4, v4, 4 clamp
	v_lshlrev_b32_e32 v6, v4, v3
	v_lshlrev_b32_e32 v4, 23, v4
	v_lshrrev_b32_e32 v6, 4, v6
	v_add_u32_e32 v5, 0x1000000, v3
	v_sub_u32_e32 v4, v6, v4
	v_ashrrev_i32_e32 v5, 8, v5
	v_add_u32_e32 v4, 0x3c000000, v4
	v_and_or_b32 v4, v5, s0, v4
	v_cmp_ne_u32_e32 vcc, 0, v3
	v_cndmask_b32_e32 v3, 0, v4, vcc
	s_brev_b32 s0, 1
	v_and_or_b32 v2, v2, s0, v3
	v_cvt_f64_f32_e32 v[2:3], v2
.LBB8_605:
	s_mov_b64 s[0:1], 0
.LBB8_606:
	s_andn2_b64 vcc, exec, s[0:1]
	s_cbranch_vccnz .LBB8_608
; %bb.607:
	global_load_ubyte v2, v[0:1], off
	s_movk_i32 s0, 0x7f00
	s_brev_b32 s1, 16
	s_waitcnt vmcnt(0)
	v_lshlrev_b16_e32 v3, 8, v2
	v_lshlrev_b32_e32 v2, 25, v2
	v_lshrrev_b32_e32 v4, 4, v2
	v_and_or_b32 v5, v3, s0, 0.5
	v_or_b32_e32 v4, 0x70000000, v4
	v_add_f32_e32 v5, -0.5, v5
	v_mul_f32_e32 v4, 0x7800000, v4
	v_cmp_gt_u32_e32 vcc, s1, v2
	v_bfe_i32 v3, v3, 0, 16
	v_cndmask_b32_e32 v2, v4, v5, vcc
	s_brev_b32 s0, 1
	v_and_or_b32 v2, v3, s0, v2
	v_cvt_f64_f32_e32 v[2:3], v2
.LBB8_608:
	s_mov_b64 s[28:29], 0
	s_mov_b64 s[0:1], -1
.LBB8_609:
	s_andn2_b64 vcc, exec, s[28:29]
	s_cbranch_vccnz .LBB8_620
; %bb.610:
	s_cmp_gt_i32 s34, 14
	s_cbranch_scc0 .LBB8_613
; %bb.611:
	s_cmp_eq_u32 s34, 15
	s_cbranch_scc0 .LBB8_614
; %bb.612:
	global_load_ushort v2, v[0:1], off
	s_mov_b64 s[0:1], -1
	s_mov_b64 s[26:27], 0
	s_waitcnt vmcnt(0)
	v_lshlrev_b32_e32 v2, 16, v2
	v_cvt_f64_f32_e32 v[2:3], v2
	s_branch .LBB8_615
.LBB8_613:
	s_mov_b64 s[28:29], -1
                                        ; implicit-def: $vgpr2_vgpr3
	s_branch .LBB8_616
.LBB8_614:
	s_mov_b64 s[26:27], -1
                                        ; implicit-def: $vgpr2_vgpr3
.LBB8_615:
	s_mov_b64 s[28:29], 0
.LBB8_616:
	s_and_b64 vcc, exec, s[28:29]
	s_cbranch_vccz .LBB8_620
; %bb.617:
	s_cmp_eq_u32 s34, 11
	s_cbranch_scc0 .LBB8_619
; %bb.618:
	global_load_ubyte v3, v[0:1], off
	v_mov_b32_e32 v4, 0x3ff00000
	v_mov_b32_e32 v2, 0
	s_mov_b64 s[0:1], -1
	s_mov_b64 s[26:27], 0
	s_waitcnt vmcnt(0)
	v_cmp_ne_u16_e32 vcc, 0, v3
	v_cndmask_b32_e32 v3, 0, v4, vcc
	s_branch .LBB8_620
.LBB8_619:
	s_mov_b64 s[26:27], -1
                                        ; implicit-def: $vgpr2_vgpr3
.LBB8_620:
	s_mov_b64 s[28:29], 0
.LBB8_621:
	s_and_b64 vcc, exec, s[28:29]
	s_cbranch_vccz .LBB8_670
; %bb.622:
	s_cmp_lt_i32 s34, 5
	s_cbranch_scc1 .LBB8_627
; %bb.623:
	s_cmp_lt_i32 s34, 8
	s_cbranch_scc1 .LBB8_628
	;; [unrolled: 3-line block ×3, first 2 shown]
; %bb.625:
	s_cmp_gt_i32 s34, 9
	s_cbranch_scc0 .LBB8_630
; %bb.626:
	global_load_dwordx2 v[2:3], v[0:1], off
	s_mov_b64 s[0:1], 0
	s_branch .LBB8_631
.LBB8_627:
	s_mov_b64 s[0:1], -1
                                        ; implicit-def: $vgpr2_vgpr3
	s_branch .LBB8_649
.LBB8_628:
	s_mov_b64 s[0:1], -1
                                        ; implicit-def: $vgpr2_vgpr3
	s_branch .LBB8_637
.LBB8_629:
	s_mov_b64 s[0:1], -1
                                        ; implicit-def: $vgpr2_vgpr3
	s_branch .LBB8_634
.LBB8_630:
	s_mov_b64 s[0:1], -1
                                        ; implicit-def: $vgpr2_vgpr3
.LBB8_631:
	s_andn2_b64 vcc, exec, s[0:1]
	s_cbranch_vccnz .LBB8_633
; %bb.632:
	global_load_dword v2, v[0:1], off
	s_waitcnt vmcnt(0)
	v_cvt_f64_f32_e32 v[2:3], v2
.LBB8_633:
	s_mov_b64 s[0:1], 0
.LBB8_634:
	s_andn2_b64 vcc, exec, s[0:1]
	s_cbranch_vccnz .LBB8_636
; %bb.635:
	global_load_dword v2, v[0:1], off
	s_waitcnt vmcnt(0)
	v_cvt_f32_f16_e32 v2, v2
	v_cvt_f64_f32_e32 v[2:3], v2
.LBB8_636:
	s_mov_b64 s[0:1], 0
.LBB8_637:
	s_andn2_b64 vcc, exec, s[0:1]
	s_cbranch_vccnz .LBB8_648
; %bb.638:
	s_cmp_lt_i32 s34, 6
	s_cbranch_scc1 .LBB8_641
; %bb.639:
	s_cmp_gt_i32 s34, 6
	s_cbranch_scc0 .LBB8_642
; %bb.640:
	global_load_dwordx2 v[2:3], v[0:1], off
	s_mov_b64 s[0:1], 0
	s_branch .LBB8_643
.LBB8_641:
	s_mov_b64 s[0:1], -1
                                        ; implicit-def: $vgpr2_vgpr3
	s_branch .LBB8_646
.LBB8_642:
	s_mov_b64 s[0:1], -1
                                        ; implicit-def: $vgpr2_vgpr3
.LBB8_643:
	s_andn2_b64 vcc, exec, s[0:1]
	s_cbranch_vccnz .LBB8_645
; %bb.644:
	global_load_dword v2, v[0:1], off
	s_waitcnt vmcnt(0)
	v_cvt_f64_f32_e32 v[2:3], v2
.LBB8_645:
	s_mov_b64 s[0:1], 0
.LBB8_646:
	s_andn2_b64 vcc, exec, s[0:1]
	s_cbranch_vccnz .LBB8_648
; %bb.647:
	global_load_ushort v2, v[0:1], off
	s_waitcnt vmcnt(0)
	v_cvt_f32_f16_e32 v2, v2
	v_cvt_f64_f32_e32 v[2:3], v2
.LBB8_648:
	s_mov_b64 s[0:1], 0
.LBB8_649:
	s_andn2_b64 vcc, exec, s[0:1]
	s_cbranch_vccnz .LBB8_669
; %bb.650:
	s_cmp_lt_i32 s34, 2
	s_cbranch_scc1 .LBB8_654
; %bb.651:
	s_cmp_lt_i32 s34, 3
	s_cbranch_scc1 .LBB8_655
; %bb.652:
	s_cmp_gt_i32 s34, 3
	s_cbranch_scc0 .LBB8_656
; %bb.653:
	global_load_dwordx2 v[2:3], v[0:1], off
	s_mov_b64 s[0:1], 0
	s_waitcnt vmcnt(0)
	v_cvt_f64_i32_e32 v[3:4], v3
	v_cvt_f64_u32_e32 v[5:6], v2
	v_ldexp_f64 v[3:4], v[3:4], 32
	v_add_f64 v[2:3], v[3:4], v[5:6]
	s_branch .LBB8_657
.LBB8_654:
	s_mov_b64 s[0:1], -1
                                        ; implicit-def: $vgpr2_vgpr3
	s_branch .LBB8_663
.LBB8_655:
	s_mov_b64 s[0:1], -1
                                        ; implicit-def: $vgpr2_vgpr3
	s_branch .LBB8_660
.LBB8_656:
	s_mov_b64 s[0:1], -1
                                        ; implicit-def: $vgpr2_vgpr3
.LBB8_657:
	s_andn2_b64 vcc, exec, s[0:1]
	s_cbranch_vccnz .LBB8_659
; %bb.658:
	global_load_dword v2, v[0:1], off
	s_waitcnt vmcnt(0)
	v_cvt_f64_i32_e32 v[2:3], v2
.LBB8_659:
	s_mov_b64 s[0:1], 0
.LBB8_660:
	s_andn2_b64 vcc, exec, s[0:1]
	s_cbranch_vccnz .LBB8_662
; %bb.661:
	global_load_sshort v2, v[0:1], off
	s_waitcnt vmcnt(0)
	v_cvt_f64_i32_e32 v[2:3], v2
.LBB8_662:
	s_mov_b64 s[0:1], 0
.LBB8_663:
	s_andn2_b64 vcc, exec, s[0:1]
	s_cbranch_vccnz .LBB8_669
; %bb.664:
	s_cmp_gt_i32 s34, 0
	s_cbranch_scc0 .LBB8_666
; %bb.665:
	global_load_sbyte v2, v[0:1], off
	s_mov_b64 s[0:1], 0
	s_waitcnt vmcnt(0)
	v_cvt_f64_i32_e32 v[2:3], v2
	s_branch .LBB8_667
.LBB8_666:
	s_mov_b64 s[0:1], -1
                                        ; implicit-def: $vgpr2_vgpr3
.LBB8_667:
	s_andn2_b64 vcc, exec, s[0:1]
	s_cbranch_vccnz .LBB8_669
; %bb.668:
	global_load_ubyte v0, v[0:1], off
	s_waitcnt vmcnt(0)
	v_cvt_f64_u32_e32 v[2:3], v0
.LBB8_669:
	s_mov_b64 s[0:1], -1
.LBB8_670:
	s_andn2_b64 vcc, exec, s[0:1]
	s_cbranch_vccnz .LBB8_690
; %bb.671:
	s_mov_b32 s0, 0
	s_mov_b32 s1, 0x40200000
	s_waitcnt vmcnt(0)
	v_cmp_le_f64_e64 s[0:1], |v[2:3]|, s[0:1]
                                        ; implicit-def: $vgpr0_vgpr1
	s_and_saveexec_b64 s[28:29], s[0:1]
	s_xor_b64 s[0:1], exec, s[28:29]
	s_cbranch_execz .LBB8_677
; %bb.672:
	v_fma_f64 v[0:1], |v[2:3]|, 0.5, -2.0
	v_mov_b32_e32 v4, 0xc38a0576
	v_mov_b32_e32 v5, 0xbc7857d0
	s_mov_b32 s29, 0x3c499f2a
	s_mov_b32 s28, 0xc3c4014
	;; [unrolled: 1-line block ×4, first 2 shown]
	v_mov_b32_e32 v12, 0xfca7ab0c
	v_fma_f64 v[4:5], v[0:1], s[28:29], v[4:5]
	s_mov_b32 s29, 0xbc499f2a
	v_mov_b32_e32 v13, 0x3e928af3
	v_cmp_ngt_f64_e32 vcc, 0, v[2:3]
	v_fma_f64 v[6:7], v[0:1], v[4:5], s[28:29]
	s_mov_b32 s28, 0xe593bfac
	s_mov_b32 s29, 0x3ca663e3
	v_add_f64 v[6:7], v[6:7], s[28:29]
	s_mov_b32 s28, 0x7e0d1573
	s_mov_b32 s29, 0xbcd3eaaa
	v_fma_f64 v[4:5], v[0:1], v[6:7], -v[4:5]
	v_add_f64 v[4:5], v[4:5], s[28:29]
	s_mov_b32 s28, 0x615290c
	s_mov_b32 s29, 0x3d011d7f
	v_fma_f64 v[6:7], v[0:1], v[4:5], -v[6:7]
	v_add_f64 v[6:7], v[6:7], s[28:29]
	s_mov_b32 s28, 0x1c8f0b3b
	s_mov_b32 s29, 0xbd2c628e
	v_fma_f64 v[4:5], v[0:1], v[6:7], -v[4:5]
	v_add_f64 v[4:5], v[4:5], s[28:29]
	s_mov_b32 s28, 0x4779d955
	s_mov_b32 s29, 0x3d56af78
	v_fma_f64 v[6:7], v[0:1], v[4:5], -v[6:7]
	v_add_f64 v[6:7], v[6:7], s[28:29]
	s_mov_b32 s28, 0x5fb70366
	s_mov_b32 s29, 0xbd817383
	v_fma_f64 v[4:5], v[0:1], v[6:7], -v[4:5]
	v_add_f64 v[4:5], v[4:5], s[28:29]
	s_mov_b32 s28, 0xb21d3154
	s_mov_b32 s29, 0x3da9cee2
	v_fma_f64 v[6:7], v[0:1], v[4:5], -v[6:7]
	v_add_f64 v[6:7], v[6:7], s[28:29]
	s_mov_b32 s28, 0x97eb07de
	s_mov_b32 s29, 0xbdd25103
	v_fma_f64 v[4:5], v[0:1], v[6:7], -v[4:5]
	v_add_f64 v[4:5], v[4:5], s[28:29]
	s_mov_b32 s28, 0xb43fdf6c
	s_mov_b32 s29, 0x3df8ea34
	v_fma_f64 v[6:7], v[0:1], v[4:5], -v[6:7]
	v_add_f64 v[6:7], v[6:7], s[28:29]
	s_mov_b32 s28, 0x28ea67e6
	s_mov_b32 s29, 0xbe20361b
	v_fma_f64 v[4:5], v[0:1], v[6:7], -v[4:5]
	v_add_f64 v[4:5], v[4:5], s[28:29]
	s_mov_b32 s28, 0x2395010
	s_mov_b32 s29, 0x3e44258e
	v_fma_f64 v[6:7], v[0:1], v[4:5], -v[6:7]
	v_add_f64 v[6:7], v[6:7], s[28:29]
	s_mov_b32 s28, 0x24b8c3e8
	s_mov_b32 s29, 0xbe67dd3e
	v_fma_f64 v[4:5], v[0:1], v[6:7], -v[4:5]
	v_add_f64 v[4:5], v[4:5], s[28:29]
	s_mov_b32 s28, 0xb347d108
	s_mov_b32 s29, 0x3e8ae344
	v_fma_f64 v[6:7], v[0:1], v[4:5], -v[6:7]
	v_add_f64 v[6:7], v[6:7], s[28:29]
	s_mov_b32 s28, 0x8363992a
	s_mov_b32 s29, 0xbeacc079
	v_fma_f64 v[4:5], v[0:1], v[6:7], -v[4:5]
	v_add_f64 v[4:5], v[4:5], s[28:29]
	s_mov_b32 s28, 0xd511afc5
	s_mov_b32 s29, 0x3ecd1c4e
	v_fma_f64 v[6:7], v[0:1], v[4:5], -v[6:7]
	v_add_f64 v[6:7], v[6:7], s[28:29]
	s_mov_b32 s28, 0xb8debbcf
	s_mov_b32 s29, 0xbeebd5f9
	v_fma_f64 v[4:5], v[0:1], v[6:7], -v[4:5]
	v_add_f64 v[4:5], v[4:5], s[28:29]
	s_mov_b32 s28, 0x42c70d0b
	s_mov_b32 s29, 0x3f0911b5
	v_fma_f64 v[6:7], v[0:1], v[4:5], -v[6:7]
	v_add_f64 v[6:7], v[6:7], s[28:29]
	s_mov_b32 s28, 0xd3d694fe
	s_mov_b32 s29, 0xbf2533ca
	v_fma_f64 v[4:5], v[0:1], v[6:7], -v[4:5]
	v_add_f64 v[4:5], v[4:5], s[28:29]
	s_mov_b32 s28, 0xb6c6df7d
	s_mov_b32 s29, 0x3f40c95d
	v_fma_f64 v[6:7], v[0:1], v[4:5], -v[6:7]
	v_add_f64 v[6:7], v[6:7], s[28:29]
	s_mov_b32 s28, 0xb3cd4a4
	s_mov_b32 s29, 0xbf58cc62
	v_fma_f64 v[4:5], v[0:1], v[6:7], -v[4:5]
	v_add_f64 v[4:5], v[4:5], s[28:29]
	s_mov_b32 s28, 0x49d3a1b4
	s_mov_b32 s29, 0x3f710653
	v_fma_f64 v[6:7], v[0:1], v[4:5], -v[6:7]
	v_add_f64 v[6:7], v[6:7], s[28:29]
	s_mov_b32 s28, 0x652b82fe
	s_mov_b32 s29, 0x3ff71547
	v_mul_f64 v[8:9], |v[2:3]|, s[28:29]
	s_mov_b32 s28, 0x7913a26a
	s_mov_b32 s29, 0xbf85a29f
	v_fma_f64 v[4:5], v[0:1], v[6:7], -v[4:5]
	v_rndne_f64_e32 v[8:9], v[8:9]
	v_add_f64 v[4:5], v[4:5], s[28:29]
	s_mov_b32 s28, 0xfefa39ef
	s_mov_b32 s29, 0xbfe62e42
	v_fma_f64 v[10:11], v[8:9], s[28:29], |v[2:3]|
	s_mov_b32 s28, 0xe7bb2349
	s_mov_b32 s29, 0x3f9951e3
	v_fma_f64 v[6:7], v[0:1], v[4:5], -v[6:7]
	v_fma_f64 v[10:11], v[8:9], s[30:31], v[10:11]
	s_mov_b32 s30, 0x623fde64
	s_mov_b32 s31, 0x3ec71dee
	v_cvt_i32_f64_e32 v8, v[8:9]
	v_add_f64 v[6:7], v[6:7], s[28:29]
	s_mov_b32 s28, 0x6a5dcb37
	s_mov_b32 s29, 0x3e5ade15
	v_fma_f64 v[12:13], v[10:11], s[28:29], v[12:13]
	s_mov_b32 s28, 0x537c9ebc
	s_mov_b32 s29, 0xbfab1bbc
	v_fma_f64 v[4:5], v[0:1], v[6:7], -v[4:5]
	v_fma_f64 v[12:13], v[10:11], v[12:13], s[30:31]
	s_mov_b32 s30, 0x14761f6e
	s_mov_b32 s31, 0x3f2a01a0
	v_add_f64 v[4:5], v[4:5], s[28:29]
	s_mov_b32 s28, 0x7c89e6b0
	s_mov_b32 s29, 0x3efa0199
	v_fma_f64 v[12:13], v[10:11], v[12:13], s[28:29]
	s_mov_b32 s28, 0xd536f53c
	s_mov_b32 s29, 0x3fba46da
	v_fma_f64 v[6:7], v[0:1], v[4:5], -v[6:7]
	v_fma_f64 v[12:13], v[10:11], v[12:13], s[30:31]
	s_mov_b32 s30, 0x11122322
	s_mov_b32 s31, 0x3f811111
	;; [unrolled: 10-line block ×3, first 2 shown]
	v_add_f64 v[4:5], v[4:5], s[28:29]
	s_mov_b32 s28, 0x555502a1
	s_mov_b32 s29, 0x3fa55555
	v_fma_f64 v[0:1], v[0:1], v[4:5], -v[6:7]
	v_fma_f64 v[4:5], v[10:11], v[12:13], s[28:29]
	s_mov_b32 s28, 0x724a7ffa
	s_mov_b32 s29, 0x3fd02a63
	v_add_f64 v[0:1], v[0:1], s[28:29]
	v_fma_f64 v[4:5], v[10:11], v[4:5], s[30:31]
	s_mov_b32 s28, 11
	s_mov_b32 s29, 0x3fe00000
	v_add_f64 v[0:1], v[0:1], -v[6:7]
	v_fma_f64 v[4:5], v[10:11], v[4:5], s[28:29]
	v_mul_f64 v[0:1], v[0:1], 0.5
	v_fma_f64 v[6:7], v[10:11], v[4:5], 1.0
	v_mul_f64 v[4:5], |v[2:3]|, v[0:1]
	v_fma_f64 v[6:7], v[10:11], v[6:7], 1.0
                                        ; implicit-def: $vgpr0_vgpr1
	s_and_saveexec_b64 s[28:29], vcc
	s_xor_b64 s[28:29], exec, s[28:29]
	s_cbranch_execz .LBB8_674
; %bb.673:
	s_mov_b32 s30, 0
	s_mov_b32 s31, 0x40900000
	v_ldexp_f64 v[0:1], v[6:7], v8
	v_cmp_ngt_f64_e64 vcc, |v[2:3]|, s[30:31]
	v_mov_b32_e32 v6, 0x7ff00000
                                        ; implicit-def: $vgpr8
                                        ; implicit-def: $vgpr2_vgpr3
	v_cndmask_b32_e32 v1, v6, v1, vcc
	v_cndmask_b32_e32 v0, 0, v0, vcc
	v_mul_f64 v[0:1], v[0:1], v[4:5]
                                        ; implicit-def: $vgpr6_vgpr7
                                        ; implicit-def: $vgpr4_vgpr5
.LBB8_674:
	s_andn2_saveexec_b64 s[28:29], s[28:29]
	s_cbranch_execz .LBB8_676
; %bb.675:
	s_mov_b32 s30, 0
	s_mov_b32 s31, 0x40900000
	v_ldexp_f64 v[0:1], -v[6:7], v8
	v_cmp_ngt_f64_e64 vcc, |v[2:3]|, s[30:31]
	v_mov_b32_e32 v6, 0xfff00000
	v_cndmask_b32_e32 v1, v6, v1, vcc
	v_cndmask_b32_e32 v0, 0, v0, vcc
	v_mul_f64 v[0:1], v[0:1], v[4:5]
.LBB8_676:
	s_or_b64 exec, exec, s[28:29]
                                        ; implicit-def: $vgpr2_vgpr3
.LBB8_677:
	s_andn2_saveexec_b64 s[28:29], s[0:1]
	s_cbranch_execz .LBB8_683
; %bb.678:
	s_mov_b32 s0, 0
	v_and_b32_e32 v1, 0x7fffffff, v3
	v_mov_b32_e32 v0, v2
	s_mov_b32 s1, 0x40400000
	v_div_scale_f64 v[4:5], s[30:31], v[0:1], v[0:1], s[0:1]
	v_div_scale_f64 v[0:1], vcc, s[0:1], v[0:1], s[0:1]
	v_mov_b32_e32 v12, 0xfca7ab0c
	v_mov_b32_e32 v13, 0x3e928af3
	v_rcp_f64_e32 v[6:7], v[4:5]
	v_fma_f64 v[8:9], -v[4:5], v[6:7], 1.0
	v_fma_f64 v[6:7], v[6:7], v[8:9], v[6:7]
	v_fma_f64 v[8:9], -v[4:5], v[6:7], 1.0
	v_fma_f64 v[6:7], v[6:7], v[8:9], v[6:7]
	v_mul_f64 v[8:9], v[0:1], v[6:7]
	v_fma_f64 v[0:1], -v[4:5], v[8:9], v[0:1]
	v_mov_b32_e32 v4, 0xea87b950
	v_mov_b32_e32 v5, 0x3c545b8a
	v_div_fmas_f64 v[0:1], v[0:1], v[6:7], v[8:9]
	v_cmp_ngt_f64_e32 vcc, 0, v[2:3]
	v_div_fixup_f64 v[0:1], v[0:1], |v[2:3]|, s[0:1]
	s_mov_b32 s1, 0x3c61556d
	s_mov_b32 s0, 0xb352e8e6
	v_add_f64 v[0:1], v[0:1], -2.0
	v_fma_f64 v[4:5], v[0:1], s[0:1], v[4:5]
	s_mov_b32 s1, 0xbc61556d
	v_fma_f64 v[6:7], v[0:1], v[4:5], s[0:1]
	s_mov_b32 s0, 0xb2532277
	s_mov_b32 s1, 0xbc8acea3
	v_add_f64 v[6:7], v[6:7], s[0:1]
	s_mov_b32 s0, 0x9c773320
	s_mov_b32 s1, 0xbc82806c
	v_fma_f64 v[4:5], v[0:1], v[6:7], -v[4:5]
	v_add_f64 v[4:5], v[4:5], s[0:1]
	s_mov_b32 s0, 0xfceb588a
	s_mov_b32 s1, 0x3cb55915
	v_fma_f64 v[6:7], v[0:1], v[4:5], -v[6:7]
	v_add_f64 v[6:7], v[6:7], s[0:1]
	s_mov_b32 s0, 0x5f04a2d1
	s_mov_b32 s1, 0x3cb7d68e
	v_fma_f64 v[4:5], v[0:1], v[6:7], -v[4:5]
	v_add_f64 v[4:5], v[4:5], s[0:1]
	s_mov_b32 s0, 0x8bc4d22a
	s_mov_b32 s1, 0xbce0efcd
	v_fma_f64 v[6:7], v[0:1], v[4:5], -v[6:7]
	v_add_f64 v[6:7], v[6:7], s[0:1]
	s_mov_b32 s0, 0x138afbc7
	s_mov_b32 s1, 0xbcf12db5
	v_fma_f64 v[4:5], v[0:1], v[6:7], -v[4:5]
	v_add_f64 v[4:5], v[4:5], s[0:1]
	s_mov_b32 s0, 0x762d31e8
	s_mov_b32 s1, 0x3d0776e1
	v_fma_f64 v[6:7], v[0:1], v[4:5], -v[6:7]
	v_add_f64 v[6:7], v[6:7], s[0:1]
	s_mov_b32 s0, 0x26b3281e
	s_mov_b32 s1, 0x3d280d3c
	v_fma_f64 v[4:5], v[0:1], v[6:7], -v[4:5]
	v_add_f64 v[4:5], v[4:5], s[0:1]
	s_mov_b32 s0, 0x2e6d22a0
	s_mov_b32 s1, 0xbd17a948
	v_fma_f64 v[6:7], v[0:1], v[4:5], -v[6:7]
	v_add_f64 v[6:7], v[6:7], s[0:1]
	s_mov_b32 s0, 0x8e73e255
	s_mov_b32 s1, 0xbd5cbc45
	v_fma_f64 v[4:5], v[0:1], v[6:7], -v[4:5]
	v_add_f64 v[4:5], v[4:5], s[0:1]
	s_mov_b32 s0, 0x76ab493
	s_mov_b32 s1, 0xbd6953e1
	v_fma_f64 v[6:7], v[0:1], v[4:5], -v[6:7]
	v_add_f64 v[6:7], v[6:7], s[0:1]
	s_mov_b32 s0, 0xf6439fa3
	s_mov_b32 s1, 0x3d81e7d3
	v_fma_f64 v[4:5], v[0:1], v[6:7], -v[4:5]
	v_add_f64 v[4:5], v[4:5], s[0:1]
	s_mov_b32 s0, 0x653c457b
	s_mov_b32 s1, 0x3daf101f
	v_fma_f64 v[6:7], v[0:1], v[4:5], -v[6:7]
	v_add_f64 v[6:7], v[6:7], s[0:1]
	s_mov_b32 s0, 0xf1587865
	s_mov_b32 s1, 0x3dc1e1a1
	v_fma_f64 v[4:5], v[0:1], v[6:7], -v[4:5]
	v_add_f64 v[4:5], v[4:5], s[0:1]
	s_mov_b32 s0, 0xd4504c0c
	s_mov_b32 s1, 0xbdb4dcf9
	v_fma_f64 v[6:7], v[0:1], v[4:5], -v[6:7]
	v_add_f64 v[6:7], v[6:7], s[0:1]
	s_mov_b32 s0, 0x652b82fe
	s_mov_b32 s1, 0x3ff71547
	v_mul_f64 v[8:9], |v[2:3]|, s[0:1]
	s_mov_b32 s0, 0x5423dd80
	s_mov_b32 s1, 0xbe0334ca
	v_fma_f64 v[4:5], v[0:1], v[6:7], -v[4:5]
	v_rndne_f64_e32 v[8:9], v[8:9]
	v_add_f64 v[4:5], v[4:5], s[0:1]
	s_mov_b32 s0, 0xfefa39ef
	s_mov_b32 s1, 0xbfe62e42
	v_fma_f64 v[10:11], v[8:9], s[0:1], |v[2:3]|
	s_mov_b32 s0, 0x9ad53528
	s_mov_b32 s1, 0xbe30790b
	v_fma_f64 v[6:7], v[0:1], v[4:5], -v[6:7]
	v_add_f64 v[6:7], v[6:7], s[0:1]
	s_mov_b32 s0, 0x3b39803f
	s_mov_b32 s1, 0xbc7abc9e
	v_fma_f64 v[10:11], v[8:9], s[0:1], v[10:11]
	s_mov_b32 s0, 0x6a5dcb37
	s_mov_b32 s1, 0x3e5ade15
	v_cvt_i32_f64_e32 v8, v[8:9]
	v_fma_f64 v[4:5], v[0:1], v[6:7], -v[4:5]
	v_fma_f64 v[12:13], v[10:11], s[0:1], v[12:13]
	s_mov_b32 s0, 0x94bb46c1
	s_mov_b32 s1, 0xbe5c4153
	v_add_f64 v[4:5], v[4:5], s[0:1]
	s_mov_b32 s0, 0x623fde64
	s_mov_b32 s1, 0x3ec71dee
	v_fma_f64 v[12:13], v[10:11], v[12:13], s[0:1]
	s_mov_b32 s0, 0x7c89e6b0
	s_mov_b32 s1, 0x3efa0199
	v_fma_f64 v[6:7], v[0:1], v[4:5], -v[6:7]
	v_fma_f64 v[12:13], v[10:11], v[12:13], s[0:1]
	s_mov_b32 s0, 0x2e9e5443
	s_mov_b32 s1, 0xbe90dbfd
	v_add_f64 v[6:7], v[6:7], s[0:1]
	s_mov_b32 s0, 0x14761f6e
	s_mov_b32 s1, 0x3f2a01a0
	v_fma_f64 v[12:13], v[10:11], v[12:13], s[0:1]
	s_mov_b32 s0, 0x1852b7b0
	s_mov_b32 s1, 0x3f56c16c
	;; [unrolled: 10-line block ×4, first 2 shown]
	v_fma_f64 v[4:5], v[0:1], v[6:7], -v[4:5]
	v_fma_f64 v[12:13], v[10:11], v[12:13], s[0:1]
	s_mov_b32 s0, 0x53fcdb4c
	s_mov_b32 s1, 0xbf83fda0
	v_add_f64 v[4:5], v[4:5], s[0:1]
	s_mov_b32 s0, 0xb55b1514
	s_mov_b32 s1, 0x3fe8ea18
	v_fma_f64 v[12:13], v[10:11], v[12:13], 1.0
	v_fma_f64 v[0:1], v[0:1], v[4:5], -v[6:7]
	v_fma_f64 v[4:5], v[10:11], v[12:13], 1.0
	v_add_f64 v[0:1], v[0:1], s[0:1]
	s_mov_b32 s0, 0
	s_mov_b32 s1, 0x40900000
	v_ldexp_f64 v[4:5], v[4:5], v8
	v_cmp_ngt_f64_e64 s[0:1], |v[2:3]|, s[0:1]
	v_mov_b32_e32 v8, 0x7ff00000
	v_add_f64 v[6:7], v[0:1], -v[6:7]
                                        ; implicit-def: $vgpr0_vgpr1
	v_cndmask_b32_e64 v5, v8, v5, s[0:1]
	v_cndmask_b32_e64 v4, 0, v4, s[0:1]
	s_and_saveexec_b64 s[0:1], vcc
	s_xor_b64 s[0:1], exec, s[0:1]
	s_cbranch_execz .LBB8_680
; %bb.679:
	s_mov_b32 s30, 0
	s_brev_b32 s31, 8
	v_cmp_lt_f64_e64 vcc, |v[2:3]|, s[30:31]
	v_mov_b32_e32 v0, 0x100
	v_mul_f64 v[6:7], v[6:7], 0.5
	v_cndmask_b32_e32 v0, 0, v0, vcc
	v_ldexp_f64 v[0:1], |v[2:3]|, v0
	v_mul_f64 v[4:5], v[4:5], v[6:7]
	v_rsq_f64_e32 v[2:3], v[0:1]
	v_mul_f64 v[8:9], v[0:1], v[2:3]
	v_mul_f64 v[2:3], v[2:3], 0.5
	v_fma_f64 v[10:11], -v[2:3], v[8:9], 0.5
	v_fma_f64 v[8:9], v[8:9], v[10:11], v[8:9]
	v_fma_f64 v[2:3], v[2:3], v[10:11], v[2:3]
	v_fma_f64 v[10:11], -v[8:9], v[8:9], v[0:1]
	v_fma_f64 v[8:9], v[10:11], v[2:3], v[8:9]
	v_fma_f64 v[10:11], -v[8:9], v[8:9], v[0:1]
	v_fma_f64 v[2:3], v[10:11], v[2:3], v[8:9]
	v_mov_b32_e32 v8, 0xffffff80
	v_mov_b32_e32 v9, 0x260
	v_cndmask_b32_e32 v8, 0, v8, vcc
	v_cmp_class_f64_e32 vcc, v[0:1], v9
	v_ldexp_f64 v[2:3], v[2:3], v8
	v_cndmask_b32_e32 v1, v3, v1, vcc
	v_cndmask_b32_e32 v0, v2, v0, vcc
	v_div_scale_f64 v[2:3], s[30:31], v[0:1], v[0:1], v[4:5]
	v_div_scale_f64 v[10:11], vcc, v[4:5], v[0:1], v[4:5]
	v_rcp_f64_e32 v[6:7], v[2:3]
	v_fma_f64 v[8:9], -v[2:3], v[6:7], 1.0
	v_fma_f64 v[6:7], v[6:7], v[8:9], v[6:7]
	v_fma_f64 v[8:9], -v[2:3], v[6:7], 1.0
	v_fma_f64 v[6:7], v[6:7], v[8:9], v[6:7]
	v_mul_f64 v[8:9], v[10:11], v[6:7]
	v_fma_f64 v[2:3], -v[2:3], v[8:9], v[10:11]
	v_div_fmas_f64 v[2:3], v[2:3], v[6:7], v[8:9]
                                        ; implicit-def: $vgpr6_vgpr7
	v_div_fixup_f64 v[0:1], v[2:3], v[0:1], v[4:5]
                                        ; implicit-def: $vgpr2_vgpr3
                                        ; implicit-def: $vgpr4_vgpr5
.LBB8_680:
	s_andn2_saveexec_b64 s[0:1], s[0:1]
	s_cbranch_execz .LBB8_682
; %bb.681:
	s_mov_b32 s30, 0
	s_brev_b32 s31, 8
	v_cmp_lt_f64_e64 vcc, |v[2:3]|, s[30:31]
	v_mov_b32_e32 v0, 0x100
	v_mul_f64 v[6:7], v[6:7], -0.5
	v_cndmask_b32_e32 v0, 0, v0, vcc
	v_ldexp_f64 v[0:1], |v[2:3]|, v0
	v_mul_f64 v[4:5], v[4:5], v[6:7]
	v_rsq_f64_e32 v[2:3], v[0:1]
	v_mul_f64 v[8:9], v[0:1], v[2:3]
	v_mul_f64 v[2:3], v[2:3], 0.5
	v_fma_f64 v[10:11], -v[2:3], v[8:9], 0.5
	v_fma_f64 v[8:9], v[8:9], v[10:11], v[8:9]
	v_fma_f64 v[2:3], v[2:3], v[10:11], v[2:3]
	v_fma_f64 v[10:11], -v[8:9], v[8:9], v[0:1]
	v_fma_f64 v[8:9], v[10:11], v[2:3], v[8:9]
	v_fma_f64 v[10:11], -v[8:9], v[8:9], v[0:1]
	v_fma_f64 v[2:3], v[10:11], v[2:3], v[8:9]
	v_mov_b32_e32 v8, 0xffffff80
	v_mov_b32_e32 v9, 0x260
	v_cndmask_b32_e32 v8, 0, v8, vcc
	v_cmp_class_f64_e32 vcc, v[0:1], v9
	v_ldexp_f64 v[2:3], v[2:3], v8
	v_cndmask_b32_e32 v1, v3, v1, vcc
	v_cndmask_b32_e32 v0, v2, v0, vcc
	v_div_scale_f64 v[2:3], s[30:31], v[0:1], v[0:1], v[4:5]
	v_div_scale_f64 v[10:11], vcc, v[4:5], v[0:1], v[4:5]
	v_rcp_f64_e32 v[6:7], v[2:3]
	v_fma_f64 v[8:9], -v[2:3], v[6:7], 1.0
	v_fma_f64 v[6:7], v[6:7], v[8:9], v[6:7]
	v_fma_f64 v[8:9], -v[2:3], v[6:7], 1.0
	v_fma_f64 v[6:7], v[6:7], v[8:9], v[6:7]
	v_mul_f64 v[8:9], v[10:11], v[6:7]
	v_fma_f64 v[2:3], -v[2:3], v[8:9], v[10:11]
	v_div_fmas_f64 v[2:3], v[2:3], v[6:7], v[8:9]
	v_div_fixup_f64 v[0:1], v[2:3], v[0:1], v[4:5]
.LBB8_682:
	s_or_b64 exec, exec, s[0:1]
.LBB8_683:
	s_or_b64 exec, exec, s[28:29]
	v_mul_lo_u32 v2, v14, s2
	v_mov_b32_e32 v3, s9
	s_and_b32 s36, s33, 0xff
	s_cmp_lt_i32 s36, 11
	v_ashrrev_i32_e32 v5, 31, v2
	v_add_co_u32_e32 v4, vcc, s8, v2
	v_addc_co_u32_e32 v5, vcc, v3, v5, vcc
	s_cbranch_scc1 .LBB8_691
; %bb.684:
	s_and_b32 s37, 0xffff, s36
	s_cmp_gt_i32 s37, 25
	s_cbranch_scc0 .LBB8_692
; %bb.685:
	s_cmp_gt_i32 s37, 28
	s_cbranch_scc0 .LBB8_693
; %bb.686:
	;; [unrolled: 3-line block ×4, first 2 shown]
	s_mov_b64 s[30:31], 0
	s_mov_b64 s[0:1], -1
	s_cmp_eq_u32 s37, 46
	s_mov_b64 s[28:29], 0
	s_cbranch_scc0 .LBB8_696
; %bb.689:
	v_cvt_f32_f64_e32 v2, v[0:1]
	s_movk_i32 s0, 0x7fff
	v_mov_b32_e32 v3, 0x7fc0
	s_mov_b64 s[28:29], -1
	v_bfe_u32 v6, v2, 16, 1
	v_cmp_o_f32_e32 vcc, v2, v2
	v_add3_u32 v2, v2, v6, s0
	v_cndmask_b32_sdwa v2, v3, v2, vcc dst_sel:DWORD dst_unused:UNUSED_PAD src0_sel:DWORD src1_sel:WORD_1
	global_store_dword v[4:5], v2, off
	s_mov_b64 s[0:1], 0
	s_branch .LBB8_696
.LBB8_690:
	s_mov_b64 s[30:31], 0
                                        ; implicit-def: $vgpr14
	s_mov_b64 s[0:1], s[20:21]
	s_branch .LBB8_807
.LBB8_691:
	s_mov_b64 s[30:31], -1
	s_mov_b64 s[28:29], 0
	s_mov_b64 s[0:1], s[20:21]
	s_branch .LBB8_765
.LBB8_692:
	s_mov_b64 s[30:31], -1
	s_mov_b64 s[28:29], 0
	s_mov_b64 s[0:1], s[20:21]
	s_branch .LBB8_723
.LBB8_693:
	s_mov_b64 s[30:31], -1
	s_mov_b64 s[28:29], 0
	s_mov_b64 s[0:1], s[20:21]
	s_branch .LBB8_706
.LBB8_694:
	s_mov_b64 s[30:31], -1
	s_mov_b64 s[28:29], 0
	s_mov_b64 s[0:1], s[20:21]
	s_branch .LBB8_702
.LBB8_695:
	s_mov_b64 s[30:31], -1
	s_mov_b64 s[28:29], 0
	s_mov_b64 s[0:1], s[20:21]
.LBB8_696:
	s_and_b64 vcc, exec, s[30:31]
	s_cbranch_vccz .LBB8_701
; %bb.697:
	s_cmp_eq_u32 s37, 44
	s_mov_b64 s[0:1], -1
	s_cbranch_scc0 .LBB8_701
; %bb.698:
	v_cvt_f32_f64_e32 v2, v[0:1]
	s_movk_i32 s0, 0xff
	v_mov_b32_e32 v6, 0xff
	v_bfe_u32 v3, v2, 23, 8
	v_cmp_ne_u32_e32 vcc, s0, v3
	s_and_saveexec_b64 s[28:29], vcc
; %bb.699:
	s_mov_b32 s0, 0x3fffff
	v_lshrrev_b32_e32 v6, 23, v2
	v_and_b32_e32 v7, 0x400000, v2
	v_and_or_b32 v2, v2, s0, v3
	v_cmp_ne_u32_e32 vcc, 0, v7
	v_cmp_ne_u32_e64 s[0:1], 0, v2
	s_and_b64 s[0:1], vcc, s[0:1]
	v_cndmask_b32_e64 v2, 0, 1, s[0:1]
	v_add_u32_e32 v6, v6, v2
; %bb.700:
	s_or_b64 exec, exec, s[28:29]
	s_mov_b64 s[28:29], -1
	s_mov_b64 s[0:1], 0
	global_store_byte v[4:5], v6, off
.LBB8_701:
	s_mov_b64 s[30:31], 0
.LBB8_702:
	s_and_b64 vcc, exec, s[30:31]
	s_cbranch_vccz .LBB8_705
; %bb.703:
	s_cmp_eq_u32 s37, 29
	s_mov_b64 s[0:1], -1
	s_cbranch_scc0 .LBB8_705
; %bb.704:
	v_trunc_f64_e32 v[2:3], v[0:1]
	s_movk_i32 s0, 0xffe0
	s_mov_b64 s[28:29], -1
	s_mov_b64 s[30:31], 0
	v_ldexp_f64 v[6:7], v[2:3], s0
	s_mov_b32 s0, 0
	s_mov_b32 s1, 0xc1f00000
	v_floor_f64_e32 v[6:7], v[6:7]
	v_fma_f64 v[2:3], v[6:7], s[0:1], v[2:3]
	v_cvt_u32_f64_e32 v7, v[6:7]
	s_mov_b64 s[0:1], 0
	v_cvt_u32_f64_e32 v6, v[2:3]
	global_store_dwordx2 v[4:5], v[6:7], off
	s_branch .LBB8_706
.LBB8_705:
	s_mov_b64 s[30:31], 0
.LBB8_706:
	s_and_b64 vcc, exec, s[30:31]
	s_cbranch_vccz .LBB8_722
; %bb.707:
	s_cmp_lt_i32 s37, 27
	s_mov_b64 s[28:29], -1
	s_cbranch_scc1 .LBB8_713
; %bb.708:
	v_cvt_u32_f64_e32 v2, v[0:1]
	s_cmp_gt_i32 s37, 27
	s_cbranch_scc0 .LBB8_710
; %bb.709:
	s_mov_b64 s[28:29], 0
	global_store_dword v[4:5], v2, off
.LBB8_710:
	s_andn2_b64 vcc, exec, s[28:29]
	s_cbranch_vccnz .LBB8_712
; %bb.711:
	global_store_short v[4:5], v2, off
.LBB8_712:
	s_mov_b64 s[28:29], 0
.LBB8_713:
	s_andn2_b64 vcc, exec, s[28:29]
	s_cbranch_vccnz .LBB8_721
; %bb.714:
	v_cvt_f32_f64_e32 v2, v[0:1]
	s_mov_b32 s28, 0x43800000
	v_mov_b32_e32 v6, 0x80
	v_and_b32_e32 v3, 0x7fffffff, v2
	v_cmp_gt_u32_e32 vcc, s28, v3
	s_and_saveexec_b64 s[28:29], vcc
	s_cbranch_execz .LBB8_720
; %bb.715:
	s_mov_b32 s30, 0x3bffffff
	v_cmp_lt_u32_e32 vcc, s30, v3
	s_mov_b64 s[30:31], 0
                                        ; implicit-def: $vgpr3
	s_and_saveexec_b64 s[34:35], vcc
	s_xor_b64 s[34:35], exec, s[34:35]
	s_cbranch_execz .LBB8_821
; %bb.716:
	v_bfe_u32 v3, v2, 20, 1
	s_mov_b32 s39, 0x487ffff
	v_add3_u32 v3, v2, v3, s39
	s_mov_b64 s[30:31], exec
	v_lshrrev_b32_e32 v3, 20, v3
	s_andn2_saveexec_b64 s[34:35], s[34:35]
	s_cbranch_execnz .LBB8_822
.LBB8_717:
	s_or_b64 exec, exec, s[34:35]
	v_mov_b32_e32 v6, 0
	s_and_saveexec_b64 s[34:35], s[30:31]
.LBB8_718:
	v_lshrrev_b32_e32 v2, 24, v2
	s_movk_i32 s30, 0x80
	v_and_or_b32 v6, v2, s30, v3
.LBB8_719:
	s_or_b64 exec, exec, s[34:35]
.LBB8_720:
	s_or_b64 exec, exec, s[28:29]
	global_store_byte v[4:5], v6, off
.LBB8_721:
	s_mov_b64 s[28:29], -1
.LBB8_722:
	s_mov_b64 s[30:31], 0
.LBB8_723:
	s_and_b64 vcc, exec, s[30:31]
	s_cbranch_vccz .LBB8_764
; %bb.724:
	s_cmp_gt_i32 s37, 22
	s_mov_b64 s[30:31], -1
	s_cbranch_scc0 .LBB8_756
; %bb.725:
	s_cmp_lt_i32 s37, 24
	s_mov_b64 s[28:29], -1
	s_cbranch_scc1 .LBB8_745
; %bb.726:
	s_cmp_gt_i32 s37, 24
	s_cbranch_scc0 .LBB8_734
; %bb.727:
	v_cvt_f32_f64_e32 v2, v[0:1]
	s_mov_b32 s28, 0x47800000
	v_mov_b32_e32 v6, 0x80
	v_and_b32_e32 v3, 0x7fffffff, v2
	v_cmp_gt_u32_e32 vcc, s28, v3
	s_and_saveexec_b64 s[28:29], vcc
	s_cbranch_execz .LBB8_733
; %bb.728:
	s_mov_b32 s30, 0x37ffffff
	v_cmp_lt_u32_e32 vcc, s30, v3
	s_mov_b64 s[30:31], 0
                                        ; implicit-def: $vgpr3
	s_and_saveexec_b64 s[34:35], vcc
	s_xor_b64 s[34:35], exec, s[34:35]
	s_cbranch_execz .LBB8_824
; %bb.729:
	v_bfe_u32 v3, v2, 21, 1
	s_mov_b32 s39, 0x88fffff
	v_add3_u32 v3, v2, v3, s39
	s_mov_b64 s[30:31], exec
	v_lshrrev_b32_e32 v3, 21, v3
	s_andn2_saveexec_b64 s[34:35], s[34:35]
	s_cbranch_execnz .LBB8_825
.LBB8_730:
	s_or_b64 exec, exec, s[34:35]
	v_mov_b32_e32 v6, 0
	s_and_saveexec_b64 s[34:35], s[30:31]
.LBB8_731:
	v_lshrrev_b32_e32 v2, 24, v2
	s_movk_i32 s30, 0x80
	v_and_or_b32 v6, v2, s30, v3
.LBB8_732:
	s_or_b64 exec, exec, s[34:35]
.LBB8_733:
	s_or_b64 exec, exec, s[28:29]
	s_mov_b64 s[28:29], 0
	global_store_byte v[4:5], v6, off
.LBB8_734:
	s_and_b64 vcc, exec, s[28:29]
	s_cbranch_vccz .LBB8_744
; %bb.735:
	v_cvt_f32_f64_e32 v2, v[0:1]
	s_mov_b32 s28, 0x43f00000
                                        ; implicit-def: $vgpr3
	v_and_b32_e32 v6, 0x7fffffff, v2
	v_cmp_gt_u32_e32 vcc, s28, v6
	s_and_saveexec_b64 s[28:29], vcc
	s_xor_b64 s[28:29], exec, s[28:29]
	s_cbranch_execz .LBB8_741
; %bb.736:
	s_mov_b32 s30, 0x3c7fffff
	v_cmp_lt_u32_e32 vcc, s30, v6
                                        ; implicit-def: $vgpr3
	s_and_saveexec_b64 s[30:31], vcc
	s_xor_b64 s[30:31], exec, s[30:31]
; %bb.737:
	v_bfe_u32 v3, v2, 20, 1
	s_mov_b32 s34, 0x407ffff
	v_add3_u32 v3, v2, v3, s34
	v_lshrrev_b32_e32 v6, 20, v3
	v_and_b32_e32 v3, 0xff00000, v3
	s_mov_b32 s34, 0x7f00000
	v_mov_b32_e32 v7, 0x7e
	v_cmp_ne_u32_e32 vcc, s34, v3
	v_cndmask_b32_e32 v3, v7, v6, vcc
; %bb.738:
	s_andn2_saveexec_b64 s[30:31], s[30:31]
; %bb.739:
	s_mov_b32 s34, 0x46800000
	v_add_f32_e64 v3, |v2|, s34
; %bb.740:
	s_or_b64 exec, exec, s[30:31]
                                        ; implicit-def: $vgpr6
.LBB8_741:
	s_andn2_saveexec_b64 s[28:29], s[28:29]
; %bb.742:
	s_mov_b32 s30, 0x7f800000
	v_mov_b32_e32 v3, 0x7e
	v_mov_b32_e32 v7, 0x7f
	v_cmp_lt_u32_e32 vcc, s30, v6
	v_cndmask_b32_e32 v3, v3, v7, vcc
; %bb.743:
	s_or_b64 exec, exec, s[28:29]
	v_lshrrev_b32_e32 v2, 24, v2
	s_movk_i32 s28, 0x80
	v_and_or_b32 v2, v2, s28, v3
	global_store_byte v[4:5], v2, off
.LBB8_744:
	s_mov_b64 s[28:29], 0
.LBB8_745:
	s_andn2_b64 vcc, exec, s[28:29]
	s_cbranch_vccnz .LBB8_755
; %bb.746:
	v_cvt_f32_f64_e32 v2, v[0:1]
	s_mov_b32 s28, 0x47800000
                                        ; implicit-def: $vgpr3
	v_and_b32_e32 v6, 0x7fffffff, v2
	v_cmp_gt_u32_e32 vcc, s28, v6
	s_and_saveexec_b64 s[28:29], vcc
	s_xor_b64 s[28:29], exec, s[28:29]
	s_cbranch_execz .LBB8_752
; %bb.747:
	s_mov_b32 s30, 0x387fffff
	v_cmp_lt_u32_e32 vcc, s30, v6
                                        ; implicit-def: $vgpr3
	s_and_saveexec_b64 s[30:31], vcc
	s_xor_b64 s[30:31], exec, s[30:31]
; %bb.748:
	v_bfe_u32 v3, v2, 21, 1
	s_mov_b32 s34, 0x80fffff
	v_add3_u32 v3, v2, v3, s34
	v_lshrrev_b32_e32 v3, 21, v3
; %bb.749:
	s_andn2_saveexec_b64 s[30:31], s[30:31]
; %bb.750:
	s_mov_b32 s34, 0x43000000
	v_add_f32_e64 v3, |v2|, s34
; %bb.751:
	s_or_b64 exec, exec, s[30:31]
                                        ; implicit-def: $vgpr6
.LBB8_752:
	s_andn2_saveexec_b64 s[28:29], s[28:29]
; %bb.753:
	s_mov_b32 s30, 0x7f800000
	v_mov_b32_e32 v3, 0x7c
	v_mov_b32_e32 v7, 0x7f
	v_cmp_lt_u32_e32 vcc, s30, v6
	v_cndmask_b32_e32 v3, v3, v7, vcc
; %bb.754:
	s_or_b64 exec, exec, s[28:29]
	v_lshrrev_b32_e32 v2, 24, v2
	s_movk_i32 s28, 0x80
	v_and_or_b32 v2, v2, s28, v3
	global_store_byte v[4:5], v2, off
.LBB8_755:
	s_mov_b64 s[30:31], 0
	s_mov_b64 s[28:29], -1
.LBB8_756:
	s_andn2_b64 vcc, exec, s[30:31]
	s_cbranch_vccnz .LBB8_764
; %bb.757:
	s_cmp_gt_i32 s37, 14
	s_mov_b64 s[30:31], -1
	s_cbranch_scc0 .LBB8_761
; %bb.758:
	s_cmp_eq_u32 s37, 15
	s_mov_b64 s[0:1], -1
	s_cbranch_scc0 .LBB8_760
; %bb.759:
	v_cvt_f32_f64_e32 v2, v[0:1]
	s_movk_i32 s0, 0x7fff
	v_mov_b32_e32 v3, 0x7fc0
	s_mov_b64 s[28:29], -1
	v_bfe_u32 v6, v2, 16, 1
	v_cmp_o_f32_e32 vcc, v2, v2
	v_add3_u32 v2, v2, v6, s0
	v_cndmask_b32_sdwa v2, v3, v2, vcc dst_sel:DWORD dst_unused:UNUSED_PAD src0_sel:DWORD src1_sel:WORD_1
	global_store_short v[4:5], v2, off
	s_mov_b64 s[0:1], 0
.LBB8_760:
	s_mov_b64 s[30:31], 0
.LBB8_761:
	s_and_b64 vcc, exec, s[30:31]
	s_cbranch_vccz .LBB8_764
; %bb.762:
	s_cmp_eq_u32 s37, 11
	s_mov_b64 s[0:1], -1
	s_cbranch_scc0 .LBB8_764
; %bb.763:
	v_cmp_neq_f64_e32 vcc, 0, v[0:1]
	s_mov_b64 s[0:1], 0
	s_mov_b64 s[28:29], -1
	v_cndmask_b32_e64 v2, 0, 1, vcc
	global_store_byte v[4:5], v2, off
.LBB8_764:
	s_mov_b64 s[30:31], 0
.LBB8_765:
	s_and_b64 vcc, exec, s[30:31]
	s_cbranch_vccz .LBB8_804
; %bb.766:
	s_and_b32 s30, 0xffff, s36
	s_cmp_lt_i32 s30, 5
	s_mov_b64 s[28:29], -1
	s_cbranch_scc1 .LBB8_787
; %bb.767:
	s_cmp_lt_i32 s30, 8
	s_cbranch_scc1 .LBB8_777
; %bb.768:
	s_cmp_lt_i32 s30, 9
	s_cbranch_scc1 .LBB8_774
; %bb.769:
	s_cmp_gt_i32 s30, 9
	s_cbranch_scc0 .LBB8_771
; %bb.770:
	v_mov_b32_e32 v2, 0
	v_mov_b32_e32 v3, v2
	s_mov_b64 s[28:29], 0
	global_store_dwordx4 v[4:5], v[0:3], off
.LBB8_771:
	s_andn2_b64 vcc, exec, s[28:29]
	s_cbranch_vccnz .LBB8_773
; %bb.772:
	v_cvt_f32_f64_e32 v2, v[0:1]
	v_mov_b32_e32 v3, 0
	global_store_dwordx2 v[4:5], v[2:3], off
.LBB8_773:
	s_mov_b64 s[28:29], 0
.LBB8_774:
	s_andn2_b64 vcc, exec, s[28:29]
	s_cbranch_vccnz .LBB8_776
; %bb.775:
	s_movk_i32 s28, 0x1ff
	v_and_or_b32 v2, v1, s28, v0
	v_cmp_ne_u32_e32 vcc, 0, v2
	v_cndmask_b32_e64 v2, 0, 1, vcc
	v_lshrrev_b32_e32 v3, 8, v1
	s_movk_i32 s28, 0xffe
	v_bfe_u32 v6, v1, 20, 11
	v_and_or_b32 v2, v3, s28, v2
	v_sub_u32_e32 v7, 0x3f1, v6
	v_or_b32_e32 v3, 0x1000, v2
	v_med3_i32 v7, v7, 0, 13
	v_lshrrev_b32_e32 v8, v7, v3
	v_lshlrev_b32_e32 v7, v7, v8
	v_cmp_ne_u32_e32 vcc, v7, v3
	v_cndmask_b32_e64 v3, 0, 1, vcc
	v_add_u32_e32 v6, 0xfffffc10, v6
	v_or_b32_e32 v3, v8, v3
	v_lshl_or_b32 v7, v6, 12, v2
	v_cmp_gt_i32_e32 vcc, 1, v6
	v_cndmask_b32_e32 v3, v7, v3, vcc
	v_and_b32_e32 v7, 7, v3
	v_cmp_lt_i32_e32 vcc, 5, v7
	v_cndmask_b32_e64 v8, 0, 1, vcc
	v_cmp_eq_u32_e32 vcc, 3, v7
	v_cndmask_b32_e64 v7, 0, 1, vcc
	v_or_b32_e32 v7, v7, v8
	v_lshrrev_b32_e32 v3, 2, v3
	v_add_u32_e32 v3, v3, v7
	v_mov_b32_e32 v7, 0x7c00
	v_cmp_gt_i32_e32 vcc, 31, v6
	v_cndmask_b32_e32 v3, v7, v3, vcc
	v_mov_b32_e32 v8, 0x7e00
	v_cmp_ne_u32_e32 vcc, 0, v2
	s_movk_i32 s28, 0x40f
	v_cndmask_b32_e32 v2, v7, v8, vcc
	v_cmp_eq_u32_e32 vcc, s28, v6
	v_cndmask_b32_e32 v2, v3, v2, vcc
	v_lshrrev_b32_e32 v3, 16, v1
	s_mov_b32 s28, 0x8000
	v_and_or_b32 v2, v3, s28, v2
	v_and_b32_e32 v2, 0xffff, v2
	global_store_dword v[4:5], v2, off
.LBB8_776:
	s_mov_b64 s[28:29], 0
.LBB8_777:
	s_andn2_b64 vcc, exec, s[28:29]
	s_cbranch_vccnz .LBB8_786
; %bb.778:
	s_cmp_lt_i32 s30, 6
	s_mov_b64 s[28:29], -1
	s_cbranch_scc1 .LBB8_784
; %bb.779:
	s_cmp_gt_i32 s30, 6
	s_cbranch_scc0 .LBB8_781
; %bb.780:
	s_mov_b64 s[28:29], 0
	global_store_dwordx2 v[4:5], v[0:1], off
.LBB8_781:
	s_andn2_b64 vcc, exec, s[28:29]
	s_cbranch_vccnz .LBB8_783
; %bb.782:
	v_cvt_f32_f64_e32 v2, v[0:1]
	global_store_dword v[4:5], v2, off
.LBB8_783:
	s_mov_b64 s[28:29], 0
.LBB8_784:
	s_andn2_b64 vcc, exec, s[28:29]
	s_cbranch_vccnz .LBB8_786
; %bb.785:
	s_movk_i32 s28, 0x1ff
	v_and_or_b32 v2, v1, s28, v0
	v_cmp_ne_u32_e32 vcc, 0, v2
	v_cndmask_b32_e64 v2, 0, 1, vcc
	v_lshrrev_b32_e32 v3, 8, v1
	s_movk_i32 s28, 0xffe
	v_bfe_u32 v6, v1, 20, 11
	v_and_or_b32 v2, v3, s28, v2
	v_sub_u32_e32 v7, 0x3f1, v6
	v_or_b32_e32 v3, 0x1000, v2
	v_med3_i32 v7, v7, 0, 13
	v_lshrrev_b32_e32 v8, v7, v3
	v_lshlrev_b32_e32 v7, v7, v8
	v_cmp_ne_u32_e32 vcc, v7, v3
	v_cndmask_b32_e64 v3, 0, 1, vcc
	v_add_u32_e32 v6, 0xfffffc10, v6
	v_or_b32_e32 v3, v8, v3
	v_lshl_or_b32 v7, v6, 12, v2
	v_cmp_gt_i32_e32 vcc, 1, v6
	v_cndmask_b32_e32 v3, v7, v3, vcc
	v_and_b32_e32 v7, 7, v3
	v_cmp_lt_i32_e32 vcc, 5, v7
	v_cndmask_b32_e64 v8, 0, 1, vcc
	v_cmp_eq_u32_e32 vcc, 3, v7
	v_cndmask_b32_e64 v7, 0, 1, vcc
	v_or_b32_e32 v7, v7, v8
	v_lshrrev_b32_e32 v3, 2, v3
	v_add_u32_e32 v3, v3, v7
	v_mov_b32_e32 v7, 0x7c00
	v_cmp_gt_i32_e32 vcc, 31, v6
	v_cndmask_b32_e32 v3, v7, v3, vcc
	v_mov_b32_e32 v8, 0x7e00
	v_cmp_ne_u32_e32 vcc, 0, v2
	s_movk_i32 s28, 0x40f
	v_cndmask_b32_e32 v2, v7, v8, vcc
	v_cmp_eq_u32_e32 vcc, s28, v6
	v_cndmask_b32_e32 v2, v3, v2, vcc
	v_lshrrev_b32_e32 v3, 16, v1
	s_mov_b32 s28, 0x8000
	v_and_or_b32 v2, v3, s28, v2
	global_store_short v[4:5], v2, off
.LBB8_786:
	s_mov_b64 s[28:29], 0
.LBB8_787:
	s_andn2_b64 vcc, exec, s[28:29]
	s_cbranch_vccnz .LBB8_803
; %bb.788:
	s_cmp_lt_i32 s30, 2
	s_mov_b64 s[28:29], -1
	s_cbranch_scc1 .LBB8_798
; %bb.789:
	s_cmp_lt_i32 s30, 3
	s_cbranch_scc1 .LBB8_795
; %bb.790:
	s_cmp_gt_i32 s30, 3
	s_cbranch_scc0 .LBB8_792
; %bb.791:
	v_trunc_f64_e32 v[2:3], v[0:1]
	s_movk_i32 s28, 0xffe0
	v_ldexp_f64 v[6:7], v[2:3], s28
	s_mov_b32 s28, 0
	s_mov_b32 s29, 0xc1f00000
	v_floor_f64_e32 v[6:7], v[6:7]
	v_fma_f64 v[2:3], v[6:7], s[28:29], v[2:3]
	v_cvt_i32_f64_e32 v7, v[6:7]
	s_mov_b64 s[28:29], 0
	v_cvt_u32_f64_e32 v6, v[2:3]
	global_store_dwordx2 v[4:5], v[6:7], off
.LBB8_792:
	s_andn2_b64 vcc, exec, s[28:29]
	s_cbranch_vccnz .LBB8_794
; %bb.793:
	v_cvt_i32_f64_e32 v2, v[0:1]
	global_store_dword v[4:5], v2, off
.LBB8_794:
	s_mov_b64 s[28:29], 0
.LBB8_795:
	s_andn2_b64 vcc, exec, s[28:29]
	s_cbranch_vccnz .LBB8_797
; %bb.796:
	v_cvt_i32_f64_e32 v2, v[0:1]
	global_store_short v[4:5], v2, off
.LBB8_797:
	s_mov_b64 s[28:29], 0
.LBB8_798:
	s_andn2_b64 vcc, exec, s[28:29]
	s_cbranch_vccnz .LBB8_803
; %bb.799:
	s_cmp_gt_i32 s30, 0
	s_mov_b64 s[28:29], -1
	s_cbranch_scc0 .LBB8_801
; %bb.800:
	v_cvt_i32_f64_e32 v2, v[0:1]
	s_mov_b64 s[28:29], 0
	global_store_byte v[4:5], v2, off
.LBB8_801:
	s_andn2_b64 vcc, exec, s[28:29]
	s_cbranch_vccnz .LBB8_803
; %bb.802:
	v_trunc_f64_e32 v[0:1], v[0:1]
	s_movk_i32 s28, 0xffe0
	v_ldexp_f64 v[2:3], v[0:1], s28
	s_mov_b32 s28, 0
	s_mov_b32 s29, 0xc1f00000
	v_floor_f64_e32 v[2:3], v[2:3]
	v_fma_f64 v[0:1], v[2:3], s[28:29], v[0:1]
	v_cvt_u32_f64_e32 v0, v[0:1]
	global_store_byte v[4:5], v0, off
.LBB8_803:
	s_mov_b64 s[28:29], -1
.LBB8_804:
	s_andn2_b64 vcc, exec, s[28:29]
	s_cbranch_vccnz .LBB8_806
; %bb.805:
	v_add_u32_e32 v14, 0x80, v14
	s_mov_b64 s[30:31], -1
	s_branch .LBB8_807
.LBB8_806:
	s_mov_b64 s[30:31], 0
                                        ; implicit-def: $vgpr14
.LBB8_807:
	s_andn2_b64 s[28:29], s[20:21], exec
	s_and_b64 s[0:1], s[0:1], exec
	s_or_b64 s[28:29], s[28:29], s[0:1]
	s_andn2_b64 s[0:1], s[18:19], exec
	s_and_b64 s[26:27], s[26:27], exec
	s_or_b64 s[0:1], s[0:1], s[26:27]
	s_orn2_b64 s[34:35], s[30:31], exec
.LBB8_808:
	s_or_b64 exec, exec, s[24:25]
	s_mov_b64 s[30:31], 0
	s_mov_b64 s[26:27], 0
	s_mov_b64 s[36:37], 0
                                        ; implicit-def: $vgpr0_vgpr1
                                        ; implicit-def: $vgpr2_vgpr3
	s_and_saveexec_b64 s[24:25], s[34:35]
	s_cbranch_execz .LBB8_893
; %bb.809:
	v_cmp_gt_i32_e32 vcc, s38, v14
	s_mov_b64 s[34:35], 0
	s_mov_b64 s[38:39], s[0:1]
	;; [unrolled: 1-line block ×3, first 2 shown]
                                        ; implicit-def: $vgpr0_vgpr1
                                        ; implicit-def: $vgpr2_vgpr3
	s_and_saveexec_b64 s[26:27], vcc
	s_cbranch_execz .LBB8_892
; %bb.810:
	v_mul_lo_u32 v0, v14, s3
	v_mov_b32_e32 v1, s11
	s_and_b32 s43, 0xffff, s42
	s_cmp_lt_i32 s43, 11
	s_waitcnt vmcnt(0)
	v_ashrrev_i32_e32 v2, 31, v0
	v_add_co_u32_e32 v0, vcc, s10, v0
	v_addc_co_u32_e32 v1, vcc, v1, v2, vcc
	s_cbranch_scc1 .LBB8_817
; %bb.811:
	s_cmp_gt_i32 s43, 25
	s_cbranch_scc0 .LBB8_818
; %bb.812:
	s_cmp_gt_i32 s43, 28
	s_cbranch_scc0 .LBB8_819
	;; [unrolled: 3-line block ×4, first 2 shown]
; %bb.815:
	s_cmp_eq_u32 s43, 46
	s_mov_b64 s[38:39], 0
	s_cbranch_scc0 .LBB8_826
; %bb.816:
	global_load_dword v2, v[0:1], off
	s_mov_b64 s[36:37], -1
	s_waitcnt vmcnt(0)
	v_lshlrev_b32_e32 v2, 16, v2
	v_cvt_f64_f32_e32 v[2:3], v2
	s_branch .LBB8_828
.LBB8_817:
	s_mov_b64 s[38:39], -1
                                        ; implicit-def: $vgpr2_vgpr3
	s_mov_b64 s[30:31], s[0:1]
	s_branch .LBB8_891
.LBB8_818:
	s_mov_b64 s[38:39], -1
	s_mov_b64 s[30:31], s[0:1]
                                        ; implicit-def: $vgpr2_vgpr3
	s_branch .LBB8_859
.LBB8_819:
	s_mov_b64 s[38:39], -1
	s_mov_b64 s[30:31], s[0:1]
                                        ; implicit-def: $vgpr2_vgpr3
	s_branch .LBB8_838
.LBB8_820:
	s_mov_b64 s[38:39], -1
	s_mov_b64 s[30:31], s[0:1]
                                        ; implicit-def: $vgpr2_vgpr3
	s_branch .LBB8_833
.LBB8_821:
	s_andn2_saveexec_b64 s[34:35], s[34:35]
	s_cbranch_execz .LBB8_717
.LBB8_822:
	s_mov_b32 s39, 0x46000000
	v_add_f32_e64 v3, |v2|, s39
	v_and_b32_e32 v3, 0xff, v3
	v_cmp_ne_u32_e32 vcc, 0, v3
	s_andn2_b64 s[30:31], s[30:31], exec
	s_and_b64 s[40:41], vcc, exec
	s_or_b64 s[30:31], s[30:31], s[40:41]
	s_or_b64 exec, exec, s[34:35]
	v_mov_b32_e32 v6, 0
	s_and_saveexec_b64 s[34:35], s[30:31]
	s_cbranch_execnz .LBB8_718
	s_branch .LBB8_719
.LBB8_823:
	s_mov_b64 s[38:39], -1
	s_mov_b64 s[30:31], s[0:1]
	s_branch .LBB8_827
.LBB8_824:
	s_andn2_saveexec_b64 s[34:35], s[34:35]
	s_cbranch_execz .LBB8_730
.LBB8_825:
	s_mov_b32 s39, 0x42800000
	v_add_f32_e64 v3, |v2|, s39
	v_and_b32_e32 v3, 0xff, v3
	v_cmp_ne_u32_e32 vcc, 0, v3
	s_andn2_b64 s[30:31], s[30:31], exec
	s_and_b64 s[40:41], vcc, exec
	s_or_b64 s[30:31], s[30:31], s[40:41]
	s_or_b64 exec, exec, s[34:35]
	v_mov_b32_e32 v6, 0
	s_and_saveexec_b64 s[34:35], s[30:31]
	s_cbranch_execnz .LBB8_731
	s_branch .LBB8_732
.LBB8_826:
	s_mov_b64 s[30:31], -1
.LBB8_827:
                                        ; implicit-def: $vgpr2_vgpr3
.LBB8_828:
	s_and_b64 vcc, exec, s[38:39]
	s_cbranch_vccz .LBB8_832
; %bb.829:
	s_cmp_eq_u32 s43, 44
	s_cbranch_scc0 .LBB8_831
; %bb.830:
	global_load_ubyte v4, v[0:1], off
	s_movk_i32 s36, 0xff
	v_bfrev_b32_e32 v5, 4
	v_mov_b32_e32 v6, 0x7ff80000
	v_bfrev_b32_e32 v7, 28
	s_mov_b64 s[30:31], 0
	s_waitcnt vmcnt(0)
	v_lshlrev_b32_e32 v2, 23, v4
	v_cvt_f64_f32_e32 v[2:3], v2
	v_cmp_ne_u32_e32 vcc, s36, v4
	s_mov_b64 s[36:37], -1
	v_cndmask_b32_e32 v2, v5, v2, vcc
	v_cndmask_b32_e32 v3, v6, v3, vcc
	v_cmp_ne_u32_e32 vcc, 0, v4
	v_cndmask_b32_e32 v3, v7, v3, vcc
	v_cndmask_b32_e32 v2, 0, v2, vcc
	s_branch .LBB8_832
.LBB8_831:
	s_mov_b64 s[30:31], -1
                                        ; implicit-def: $vgpr2_vgpr3
.LBB8_832:
	s_mov_b64 s[38:39], 0
.LBB8_833:
	s_and_b64 vcc, exec, s[38:39]
	s_cbranch_vccz .LBB8_837
; %bb.834:
	s_cmp_eq_u32 s43, 29
	s_cbranch_scc0 .LBB8_836
; %bb.835:
	global_load_dwordx2 v[2:3], v[0:1], off
	s_mov_b64 s[30:31], 0
	s_mov_b64 s[36:37], -1
	s_mov_b64 s[38:39], 0
	s_waitcnt vmcnt(0)
	v_cvt_f64_u32_e32 v[3:4], v3
	v_cvt_f64_u32_e32 v[5:6], v2
	v_ldexp_f64 v[3:4], v[3:4], 32
	v_add_f64 v[2:3], v[3:4], v[5:6]
	s_branch .LBB8_838
.LBB8_836:
	s_mov_b64 s[30:31], -1
                                        ; implicit-def: $vgpr2_vgpr3
.LBB8_837:
	s_mov_b64 s[38:39], 0
.LBB8_838:
	s_and_b64 vcc, exec, s[38:39]
	s_cbranch_vccz .LBB8_858
; %bb.839:
	s_cmp_lt_i32 s43, 27
	s_cbranch_scc1 .LBB8_842
; %bb.840:
	s_cmp_gt_i32 s43, 27
	s_cbranch_scc0 .LBB8_843
; %bb.841:
	global_load_dword v2, v[0:1], off
	s_mov_b64 s[36:37], 0
	s_waitcnt vmcnt(0)
	v_cvt_f64_u32_e32 v[2:3], v2
	s_branch .LBB8_844
.LBB8_842:
	s_mov_b64 s[36:37], -1
                                        ; implicit-def: $vgpr2_vgpr3
	s_branch .LBB8_847
.LBB8_843:
	s_mov_b64 s[36:37], -1
                                        ; implicit-def: $vgpr2_vgpr3
.LBB8_844:
	s_andn2_b64 vcc, exec, s[36:37]
	s_cbranch_vccnz .LBB8_846
; %bb.845:
	global_load_ushort v2, v[0:1], off
	s_waitcnt vmcnt(0)
	v_cvt_f64_u32_e32 v[2:3], v2
.LBB8_846:
	s_mov_b64 s[36:37], 0
.LBB8_847:
	s_andn2_b64 vcc, exec, s[36:37]
	s_cbranch_vccnz .LBB8_857
; %bb.848:
	global_load_ubyte v4, v[0:1], off
	s_movk_i32 s36, 0x7f
	s_waitcnt vmcnt(0)
	v_cmp_lt_i16_e32 vcc, s36, v4
	s_mov_b64 s[36:37], 0
	s_and_saveexec_b64 s[38:39], vcc
	s_xor_b64 s[38:39], exec, s[38:39]
	s_cbranch_execz .LBB8_852
; %bb.849:
	s_movk_i32 s36, 0x80
	v_cmp_eq_u16_e32 vcc, s36, v4
	s_mov_b64 s[36:37], -1
	s_and_saveexec_b64 s[40:41], vcc
; %bb.850:
	s_xor_b64 s[36:37], exec, -1
; %bb.851:
	s_or_b64 exec, exec, s[40:41]
	s_and_b64 s[36:37], s[36:37], exec
.LBB8_852:
	s_or_saveexec_b64 s[38:39], s[38:39]
	v_bfrev_b32_e32 v2, 4
	v_mov_b32_e32 v3, 0x7ff80000
	s_xor_b64 exec, exec, s[38:39]
; %bb.853:
	v_cmp_ne_u16_e32 vcc, 0, v4
	v_mov_b32_e32 v2, 0
	s_andn2_b64 s[36:37], s[36:37], exec
	s_and_b64 s[40:41], vcc, exec
	v_mov_b32_e32 v3, 0
	s_or_b64 s[36:37], s[36:37], s[40:41]
; %bb.854:
	s_or_b64 exec, exec, s[38:39]
	s_and_saveexec_b64 s[38:39], s[36:37]
	s_cbranch_execz .LBB8_856
; %bb.855:
	v_and_b32_e32 v3, 0xffff, v4
	v_lshlrev_b32_e32 v2, 24, v4
	v_and_b32_e32 v4, 7, v3
	v_ffbh_u32_e32 v6, v4
	v_min_u32_e32 v6, 32, v6
	v_subrev_u32_e32 v7, 28, v6
	v_bfe_u32 v5, v3, 3, 4
	v_lshlrev_b32_e32 v3, v7, v3
	v_sub_u32_e32 v6, 29, v6
	v_and_b32_e32 v3, 7, v3
	v_cmp_eq_u32_e32 vcc, 0, v5
	v_cndmask_b32_e32 v5, v5, v6, vcc
	v_cndmask_b32_e32 v3, v4, v3, vcc
	v_mov_b32_e32 v4, 0x3b800000
	v_lshlrev_b32_e32 v3, 20, v3
	v_and_b32_e32 v2, 0x80000000, v2
	v_lshl_add_u32 v4, v5, 23, v4
	v_or3_b32 v2, v2, v4, v3
	v_cvt_f64_f32_e32 v[2:3], v2
.LBB8_856:
	s_or_b64 exec, exec, s[38:39]
.LBB8_857:
	s_mov_b64 s[36:37], -1
.LBB8_858:
	s_mov_b64 s[38:39], 0
.LBB8_859:
	s_and_b64 vcc, exec, s[38:39]
	s_cbranch_vccz .LBB8_890
; %bb.860:
	s_cmp_gt_i32 s43, 22
	s_cbranch_scc0 .LBB8_872
; %bb.861:
	s_cmp_lt_i32 s43, 24
	s_cbranch_scc1 .LBB8_873
; %bb.862:
	s_cmp_gt_i32 s43, 24
	s_cbranch_scc0 .LBB8_874
; %bb.863:
	global_load_ubyte v4, v[0:1], off
	s_movk_i32 s34, 0x7f
	s_waitcnt vmcnt(0)
	v_cmp_lt_i16_e32 vcc, s34, v4
	s_mov_b64 s[34:35], 0
	s_and_saveexec_b64 s[36:37], vcc
	s_xor_b64 s[36:37], exec, s[36:37]
	s_cbranch_execz .LBB8_867
; %bb.864:
	s_movk_i32 s34, 0x80
	v_cmp_eq_u16_e32 vcc, s34, v4
	s_mov_b64 s[34:35], -1
	s_and_saveexec_b64 s[38:39], vcc
; %bb.865:
	s_xor_b64 s[34:35], exec, -1
; %bb.866:
	s_or_b64 exec, exec, s[38:39]
	s_and_b64 s[34:35], s[34:35], exec
.LBB8_867:
	s_or_saveexec_b64 s[36:37], s[36:37]
	v_bfrev_b32_e32 v2, 4
	v_mov_b32_e32 v3, 0x7ff80000
	s_xor_b64 exec, exec, s[36:37]
; %bb.868:
	v_cmp_ne_u16_e32 vcc, 0, v4
	v_mov_b32_e32 v2, 0
	s_andn2_b64 s[34:35], s[34:35], exec
	s_and_b64 s[38:39], vcc, exec
	v_mov_b32_e32 v3, 0
	s_or_b64 s[34:35], s[34:35], s[38:39]
; %bb.869:
	s_or_b64 exec, exec, s[36:37]
	s_and_saveexec_b64 s[36:37], s[34:35]
	s_cbranch_execz .LBB8_871
; %bb.870:
	v_and_b32_e32 v3, 0xffff, v4
	v_lshlrev_b32_e32 v2, 24, v4
	v_and_b32_e32 v4, 3, v3
	v_ffbh_u32_e32 v6, v4
	v_min_u32_e32 v6, 32, v6
	v_subrev_u32_e32 v7, 29, v6
	v_bfe_u32 v5, v3, 2, 5
	v_lshlrev_b32_e32 v3, v7, v3
	v_sub_u32_e32 v6, 30, v6
	v_and_b32_e32 v3, 3, v3
	v_cmp_eq_u32_e32 vcc, 0, v5
	v_cndmask_b32_e32 v5, v5, v6, vcc
	v_cndmask_b32_e32 v3, v4, v3, vcc
	v_mov_b32_e32 v4, 0x37800000
	v_lshlrev_b32_e32 v3, 21, v3
	v_and_b32_e32 v2, 0x80000000, v2
	v_lshl_add_u32 v4, v5, 23, v4
	v_or3_b32 v2, v2, v4, v3
	v_cvt_f64_f32_e32 v[2:3], v2
.LBB8_871:
	s_or_b64 exec, exec, s[36:37]
	s_mov_b64 s[34:35], 0
	s_branch .LBB8_875
.LBB8_872:
	s_mov_b64 s[34:35], -1
                                        ; implicit-def: $vgpr2_vgpr3
	s_branch .LBB8_881
.LBB8_873:
	s_mov_b64 s[34:35], -1
                                        ; implicit-def: $vgpr2_vgpr3
	s_branch .LBB8_878
.LBB8_874:
	s_mov_b64 s[34:35], -1
                                        ; implicit-def: $vgpr2_vgpr3
.LBB8_875:
	s_and_b64 vcc, exec, s[34:35]
	s_cbranch_vccz .LBB8_877
; %bb.876:
	global_load_ubyte v2, v[0:1], off
	s_mov_b32 s34, 0x7f800000
	s_waitcnt vmcnt(0)
	v_lshlrev_b32_e32 v2, 24, v2
	v_and_b32_e32 v3, 0x7f000000, v2
	v_ffbh_u32_e32 v4, v3
	v_min_u32_e32 v4, 32, v4
	v_sub_u32_e64 v4, v4, 4 clamp
	v_lshlrev_b32_e32 v6, v4, v3
	v_lshlrev_b32_e32 v4, 23, v4
	v_lshrrev_b32_e32 v6, 4, v6
	v_add_u32_e32 v5, 0x1000000, v3
	v_sub_u32_e32 v4, v6, v4
	v_ashrrev_i32_e32 v5, 8, v5
	v_add_u32_e32 v4, 0x3c000000, v4
	v_and_or_b32 v4, v5, s34, v4
	v_cmp_ne_u32_e32 vcc, 0, v3
	v_cndmask_b32_e32 v3, 0, v4, vcc
	s_brev_b32 s34, 1
	v_and_or_b32 v2, v2, s34, v3
	v_cvt_f64_f32_e32 v[2:3], v2
.LBB8_877:
	s_mov_b64 s[34:35], 0
.LBB8_878:
	s_andn2_b64 vcc, exec, s[34:35]
	s_cbranch_vccnz .LBB8_880
; %bb.879:
	global_load_ubyte v2, v[0:1], off
	s_movk_i32 s34, 0x7f00
	s_brev_b32 s35, 16
	s_waitcnt vmcnt(0)
	v_lshlrev_b16_e32 v3, 8, v2
	v_lshlrev_b32_e32 v2, 25, v2
	v_lshrrev_b32_e32 v4, 4, v2
	v_and_or_b32 v5, v3, s34, 0.5
	v_or_b32_e32 v4, 0x70000000, v4
	v_add_f32_e32 v5, -0.5, v5
	v_mul_f32_e32 v4, 0x7800000, v4
	v_cmp_gt_u32_e32 vcc, s35, v2
	v_bfe_i32 v3, v3, 0, 16
	v_cndmask_b32_e32 v2, v4, v5, vcc
	s_brev_b32 s34, 1
	v_and_or_b32 v2, v3, s34, v2
	v_cvt_f64_f32_e32 v[2:3], v2
.LBB8_880:
	s_mov_b64 s[34:35], 0
	s_mov_b64 s[36:37], -1
.LBB8_881:
	s_andn2_b64 vcc, exec, s[34:35]
	s_mov_b64 s[34:35], 0
	s_cbranch_vccnz .LBB8_890
; %bb.882:
	s_cmp_gt_i32 s43, 14
	s_cbranch_scc0 .LBB8_885
; %bb.883:
	s_cmp_eq_u32 s43, 15
	s_cbranch_scc0 .LBB8_886
; %bb.884:
	global_load_ushort v2, v[0:1], off
	s_mov_b64 s[30:31], 0
	s_mov_b64 s[36:37], -1
	s_waitcnt vmcnt(0)
	v_lshlrev_b32_e32 v2, 16, v2
	v_cvt_f64_f32_e32 v[2:3], v2
	s_branch .LBB8_887
.LBB8_885:
	s_mov_b64 s[38:39], -1
                                        ; implicit-def: $vgpr2_vgpr3
	s_branch .LBB8_888
.LBB8_886:
	s_mov_b64 s[30:31], -1
                                        ; implicit-def: $vgpr2_vgpr3
.LBB8_887:
	s_mov_b64 s[38:39], 0
.LBB8_888:
	s_and_b64 vcc, exec, s[38:39]
	s_cbranch_vccz .LBB8_890
; %bb.889:
	s_cmp_lg_u32 s43, 11
	s_cselect_b64 s[38:39], -1, 0
	s_andn2_b64 s[30:31], s[30:31], exec
	s_and_b64 s[38:39], s[38:39], exec
	s_mov_b64 s[34:35], -1
	s_or_b64 s[30:31], s[30:31], s[38:39]
.LBB8_890:
	s_mov_b64 s[38:39], 0
.LBB8_891:
	s_and_b64 s[40:41], s[38:39], exec
	s_andn2_b64 s[38:39], s[0:1], exec
	s_and_b64 s[30:31], s[30:31], exec
	s_and_b64 s[36:37], s[36:37], exec
	;; [unrolled: 1-line block ×3, first 2 shown]
	s_or_b64 s[38:39], s[38:39], s[30:31]
.LBB8_892:
	s_or_b64 exec, exec, s[26:27]
	s_and_b64 s[30:31], s[34:35], exec
	s_andn2_b64 s[0:1], s[0:1], exec
	s_and_b64 s[34:35], s[38:39], exec
	s_and_b64 s[36:37], s[36:37], exec
	;; [unrolled: 1-line block ×3, first 2 shown]
	s_or_b64 s[0:1], s[0:1], s[34:35]
.LBB8_893:
	s_or_b64 exec, exec, s[24:25]
	s_andn2_b64 s[20:21], s[20:21], exec
	s_and_b64 s[24:25], s[28:29], exec
	s_andn2_b64 s[18:19], s[18:19], exec
	s_and_b64 s[0:1], s[0:1], exec
	s_or_b64 s[20:21], s[20:21], s[24:25]
	s_and_b64 s[28:29], s[36:37], exec
	s_and_b64 s[26:27], s[26:27], exec
	;; [unrolled: 1-line block ×3, first 2 shown]
	s_or_b64 s[18:19], s[18:19], s[0:1]
.LBB8_894:
	s_or_b64 exec, exec, s[22:23]
	s_andn2_b64 s[0:1], s[6:7], exec
	s_and_b64 s[6:7], s[20:21], exec
	s_andn2_b64 s[14:15], s[14:15], exec
	s_and_b64 s[18:19], s[18:19], exec
	s_or_b64 s[6:7], s[0:1], s[6:7]
	s_and_b64 s[0:1], s[28:29], exec
	s_and_b64 s[22:23], s[26:27], exec
	;; [unrolled: 1-line block ×3, first 2 shown]
	s_or_b64 s[14:15], s[14:15], s[18:19]
	s_or_b64 exec, exec, s[16:17]
	s_mov_b64 s[16:17], 0
	s_and_saveexec_b64 s[18:19], s[14:15]
	s_cbranch_execz .LBB8_274
.LBB8_895:
	s_mov_b64 s[16:17], exec
	s_andn2_b64 s[20:21], s[20:21], exec
	s_trap 2
	s_or_b64 exec, exec, s[18:19]
	s_and_saveexec_b64 s[14:15], s[20:21]
	s_xor_b64 s[14:15], exec, s[14:15]
	s_cbranch_execnz .LBB8_275
.LBB8_896:
	s_or_b64 exec, exec, s[14:15]
	s_and_saveexec_b64 s[14:15], s[22:23]
	s_cbranch_execz .LBB8_942
.LBB8_897:
	s_sext_i32_i16 s18, s42
	s_cmp_lt_i32 s18, 5
	s_cbranch_scc1 .LBB8_902
; %bb.898:
	s_cmp_lt_i32 s18, 8
	s_cbranch_scc1 .LBB8_903
; %bb.899:
	;; [unrolled: 3-line block ×3, first 2 shown]
	s_cmp_gt_i32 s18, 9
	s_cbranch_scc0 .LBB8_905
; %bb.901:
	global_load_dwordx2 v[2:3], v[0:1], off
	s_mov_b64 s[18:19], 0
	s_branch .LBB8_906
.LBB8_902:
                                        ; implicit-def: $vgpr2_vgpr3
	s_branch .LBB8_923
.LBB8_903:
                                        ; implicit-def: $vgpr2_vgpr3
	s_branch .LBB8_912
.LBB8_904:
	s_mov_b64 s[18:19], -1
                                        ; implicit-def: $vgpr2_vgpr3
	s_branch .LBB8_909
.LBB8_905:
	s_mov_b64 s[18:19], -1
                                        ; implicit-def: $vgpr2_vgpr3
.LBB8_906:
	s_andn2_b64 vcc, exec, s[18:19]
	s_cbranch_vccnz .LBB8_908
; %bb.907:
	global_load_dword v2, v[0:1], off
	s_waitcnt vmcnt(0)
	v_cvt_f64_f32_e32 v[2:3], v2
.LBB8_908:
	s_mov_b64 s[18:19], 0
.LBB8_909:
	s_andn2_b64 vcc, exec, s[18:19]
	s_cbranch_vccnz .LBB8_911
; %bb.910:
	global_load_dword v2, v[0:1], off
	s_waitcnt vmcnt(0)
	v_cvt_f32_f16_e32 v2, v2
	v_cvt_f64_f32_e32 v[2:3], v2
.LBB8_911:
	s_cbranch_execnz .LBB8_922
.LBB8_912:
	s_sext_i32_i16 s18, s42
	s_cmp_lt_i32 s18, 6
	s_cbranch_scc1 .LBB8_915
; %bb.913:
	s_cmp_gt_i32 s18, 6
	s_cbranch_scc0 .LBB8_916
; %bb.914:
	global_load_dwordx2 v[2:3], v[0:1], off
	s_mov_b64 s[18:19], 0
	s_branch .LBB8_917
.LBB8_915:
	s_mov_b64 s[18:19], -1
                                        ; implicit-def: $vgpr2_vgpr3
	s_branch .LBB8_920
.LBB8_916:
	s_mov_b64 s[18:19], -1
                                        ; implicit-def: $vgpr2_vgpr3
.LBB8_917:
	s_andn2_b64 vcc, exec, s[18:19]
	s_cbranch_vccnz .LBB8_919
; %bb.918:
	global_load_dword v2, v[0:1], off
	s_waitcnt vmcnt(0)
	v_cvt_f64_f32_e32 v[2:3], v2
.LBB8_919:
	s_mov_b64 s[18:19], 0
.LBB8_920:
	s_andn2_b64 vcc, exec, s[18:19]
	s_cbranch_vccnz .LBB8_922
; %bb.921:
	global_load_ushort v2, v[0:1], off
	s_waitcnt vmcnt(0)
	v_cvt_f32_f16_e32 v2, v2
	v_cvt_f64_f32_e32 v[2:3], v2
.LBB8_922:
	s_cbranch_execnz .LBB8_941
.LBB8_923:
	s_sext_i32_i16 s18, s42
	s_cmp_lt_i32 s18, 2
	s_cbranch_scc1 .LBB8_927
; %bb.924:
	s_cmp_lt_i32 s18, 3
	s_cbranch_scc1 .LBB8_928
; %bb.925:
	s_cmp_gt_i32 s18, 3
	s_cbranch_scc0 .LBB8_929
; %bb.926:
	global_load_dwordx2 v[2:3], v[0:1], off
	s_mov_b64 s[18:19], 0
	s_waitcnt vmcnt(0)
	v_cvt_f64_i32_e32 v[3:4], v3
	v_cvt_f64_u32_e32 v[5:6], v2
	v_ldexp_f64 v[3:4], v[3:4], 32
	v_add_f64 v[2:3], v[3:4], v[5:6]
	s_branch .LBB8_930
.LBB8_927:
                                        ; implicit-def: $vgpr2_vgpr3
	s_branch .LBB8_936
.LBB8_928:
	s_mov_b64 s[18:19], -1
                                        ; implicit-def: $vgpr2_vgpr3
	s_branch .LBB8_933
.LBB8_929:
	s_mov_b64 s[18:19], -1
                                        ; implicit-def: $vgpr2_vgpr3
.LBB8_930:
	s_andn2_b64 vcc, exec, s[18:19]
	s_cbranch_vccnz .LBB8_932
; %bb.931:
	global_load_dword v2, v[0:1], off
	s_waitcnt vmcnt(0)
	v_cvt_f64_i32_e32 v[2:3], v2
.LBB8_932:
	s_mov_b64 s[18:19], 0
.LBB8_933:
	s_andn2_b64 vcc, exec, s[18:19]
	s_cbranch_vccnz .LBB8_935
; %bb.934:
	global_load_sshort v2, v[0:1], off
	s_waitcnt vmcnt(0)
	v_cvt_f64_i32_e32 v[2:3], v2
.LBB8_935:
	s_cbranch_execnz .LBB8_941
.LBB8_936:
	s_sext_i32_i16 s18, s42
	s_cmp_gt_i32 s18, 0
	s_cbranch_scc0 .LBB8_938
; %bb.937:
	global_load_sbyte v2, v[0:1], off
	s_mov_b64 s[18:19], 0
	s_waitcnt vmcnt(0)
	v_cvt_f64_i32_e32 v[2:3], v2
	s_branch .LBB8_939
.LBB8_938:
	s_mov_b64 s[18:19], -1
                                        ; implicit-def: $vgpr2_vgpr3
.LBB8_939:
	s_andn2_b64 vcc, exec, s[18:19]
	s_cbranch_vccnz .LBB8_941
; %bb.940:
	global_load_ubyte v0, v[0:1], off
	s_waitcnt vmcnt(0)
	v_cvt_f64_u32_e32 v[2:3], v0
.LBB8_941:
	s_or_b64 s[0:1], s[0:1], exec
.LBB8_942:
	s_or_b64 exec, exec, s[14:15]
	s_mov_b64 s[20:21], 0
	s_mov_b64 s[18:19], 0
                                        ; implicit-def: $sgpr26
                                        ; implicit-def: $vgpr4_vgpr5
                                        ; implicit-def: $vgpr0_vgpr1
	s_and_saveexec_b64 s[14:15], s[0:1]
	s_cbranch_execz .LBB8_962
; %bb.943:
	s_mov_b32 s0, 0
	s_mov_b32 s1, 0x40200000
	s_waitcnt vmcnt(0)
	v_cmp_le_f64_e64 s[0:1], |v[2:3]|, s[0:1]
                                        ; implicit-def: $vgpr0_vgpr1
	s_and_saveexec_b64 s[18:19], s[0:1]
	s_xor_b64 s[0:1], exec, s[18:19]
	s_cbranch_execz .LBB8_949
; %bb.944:
	v_fma_f64 v[0:1], |v[2:3]|, 0.5, -2.0
	v_mov_b32_e32 v4, 0xc38a0576
	v_mov_b32_e32 v5, 0xbc7857d0
	s_mov_b32 s19, 0x3c499f2a
	s_mov_b32 s18, 0xc3c4014
	;; [unrolled: 1-line block ×4, first 2 shown]
	v_mov_b32_e32 v12, 0xfca7ab0c
	v_fma_f64 v[4:5], v[0:1], s[18:19], v[4:5]
	s_mov_b32 s19, 0xbc499f2a
	v_mov_b32_e32 v13, 0x3e928af3
	v_cmp_ngt_f64_e32 vcc, 0, v[2:3]
	v_fma_f64 v[6:7], v[0:1], v[4:5], s[18:19]
	s_mov_b32 s18, 0xe593bfac
	s_mov_b32 s19, 0x3ca663e3
	v_add_f64 v[6:7], v[6:7], s[18:19]
	s_mov_b32 s18, 0x7e0d1573
	s_mov_b32 s19, 0xbcd3eaaa
	v_fma_f64 v[4:5], v[0:1], v[6:7], -v[4:5]
	v_add_f64 v[4:5], v[4:5], s[18:19]
	s_mov_b32 s18, 0x615290c
	s_mov_b32 s19, 0x3d011d7f
	v_fma_f64 v[6:7], v[0:1], v[4:5], -v[6:7]
	;; [unrolled: 4-line block ×20, first 2 shown]
	v_add_f64 v[6:7], v[6:7], s[18:19]
	s_mov_b32 s18, 0x652b82fe
	s_mov_b32 s19, 0x3ff71547
	v_mul_f64 v[8:9], |v[2:3]|, s[18:19]
	s_mov_b32 s18, 0x7913a26a
	s_mov_b32 s19, 0xbf85a29f
	v_fma_f64 v[4:5], v[0:1], v[6:7], -v[4:5]
	v_rndne_f64_e32 v[8:9], v[8:9]
	v_add_f64 v[4:5], v[4:5], s[18:19]
	s_mov_b32 s18, 0xfefa39ef
	s_mov_b32 s19, 0xbfe62e42
	v_fma_f64 v[10:11], v[8:9], s[18:19], |v[2:3]|
	s_mov_b32 s18, 0xe7bb2349
	s_mov_b32 s19, 0x3f9951e3
	v_fma_f64 v[6:7], v[0:1], v[4:5], -v[6:7]
	v_fma_f64 v[10:11], v[8:9], s[20:21], v[10:11]
	s_mov_b32 s20, 0x623fde64
	s_mov_b32 s21, 0x3ec71dee
	v_cvt_i32_f64_e32 v8, v[8:9]
	v_add_f64 v[6:7], v[6:7], s[18:19]
	s_mov_b32 s18, 0x6a5dcb37
	s_mov_b32 s19, 0x3e5ade15
	v_fma_f64 v[12:13], v[10:11], s[18:19], v[12:13]
	s_mov_b32 s18, 0x537c9ebc
	s_mov_b32 s19, 0xbfab1bbc
	v_fma_f64 v[4:5], v[0:1], v[6:7], -v[4:5]
	v_fma_f64 v[12:13], v[10:11], v[12:13], s[20:21]
	s_mov_b32 s20, 0x14761f6e
	s_mov_b32 s21, 0x3f2a01a0
	v_add_f64 v[4:5], v[4:5], s[18:19]
	s_mov_b32 s18, 0x7c89e6b0
	s_mov_b32 s19, 0x3efa0199
	v_fma_f64 v[12:13], v[10:11], v[12:13], s[18:19]
	s_mov_b32 s18, 0xd536f53c
	s_mov_b32 s19, 0x3fba46da
	v_fma_f64 v[6:7], v[0:1], v[4:5], -v[6:7]
	v_fma_f64 v[12:13], v[10:11], v[12:13], s[20:21]
	s_mov_b32 s20, 0x11122322
	s_mov_b32 s21, 0x3f811111
	;; [unrolled: 10-line block ×3, first 2 shown]
	v_add_f64 v[4:5], v[4:5], s[18:19]
	s_mov_b32 s18, 0x555502a1
	s_mov_b32 s19, 0x3fa55555
	v_fma_f64 v[0:1], v[0:1], v[4:5], -v[6:7]
	v_fma_f64 v[4:5], v[10:11], v[12:13], s[18:19]
	s_mov_b32 s18, 0x724a7ffa
	s_mov_b32 s19, 0x3fd02a63
	v_add_f64 v[0:1], v[0:1], s[18:19]
	v_fma_f64 v[4:5], v[10:11], v[4:5], s[20:21]
	s_mov_b32 s18, 11
	s_mov_b32 s19, 0x3fe00000
	v_add_f64 v[0:1], v[0:1], -v[6:7]
	v_fma_f64 v[4:5], v[10:11], v[4:5], s[18:19]
	v_mul_f64 v[0:1], v[0:1], 0.5
	v_fma_f64 v[6:7], v[10:11], v[4:5], 1.0
	v_mul_f64 v[4:5], |v[2:3]|, v[0:1]
	v_fma_f64 v[6:7], v[10:11], v[6:7], 1.0
                                        ; implicit-def: $vgpr0_vgpr1
	s_and_saveexec_b64 s[18:19], vcc
	s_xor_b64 s[18:19], exec, s[18:19]
	s_cbranch_execz .LBB8_946
; %bb.945:
	s_mov_b32 s20, 0
	s_mov_b32 s21, 0x40900000
	v_ldexp_f64 v[0:1], v[6:7], v8
	v_cmp_ngt_f64_e64 vcc, |v[2:3]|, s[20:21]
	v_mov_b32_e32 v6, 0x7ff00000
                                        ; implicit-def: $vgpr8
                                        ; implicit-def: $vgpr2_vgpr3
	v_cndmask_b32_e32 v1, v6, v1, vcc
	v_cndmask_b32_e32 v0, 0, v0, vcc
	v_mul_f64 v[0:1], v[0:1], v[4:5]
                                        ; implicit-def: $vgpr6_vgpr7
                                        ; implicit-def: $vgpr4_vgpr5
.LBB8_946:
	s_andn2_saveexec_b64 s[18:19], s[18:19]
	s_cbranch_execz .LBB8_948
; %bb.947:
	s_mov_b32 s20, 0
	s_mov_b32 s21, 0x40900000
	v_ldexp_f64 v[0:1], -v[6:7], v8
	v_cmp_ngt_f64_e64 vcc, |v[2:3]|, s[20:21]
	v_mov_b32_e32 v6, 0xfff00000
	v_cndmask_b32_e32 v1, v6, v1, vcc
	v_cndmask_b32_e32 v0, 0, v0, vcc
	v_mul_f64 v[0:1], v[0:1], v[4:5]
.LBB8_948:
	s_or_b64 exec, exec, s[18:19]
                                        ; implicit-def: $vgpr2_vgpr3
.LBB8_949:
	s_andn2_saveexec_b64 s[18:19], s[0:1]
	s_cbranch_execz .LBB8_955
; %bb.950:
	s_mov_b32 s0, 0
	v_and_b32_e32 v1, 0x7fffffff, v3
	v_mov_b32_e32 v0, v2
	s_mov_b32 s1, 0x40400000
	v_div_scale_f64 v[4:5], s[20:21], v[0:1], v[0:1], s[0:1]
	v_div_scale_f64 v[0:1], vcc, s[0:1], v[0:1], s[0:1]
	v_mov_b32_e32 v12, 0xfca7ab0c
	v_mov_b32_e32 v13, 0x3e928af3
	v_rcp_f64_e32 v[6:7], v[4:5]
	v_fma_f64 v[8:9], -v[4:5], v[6:7], 1.0
	v_fma_f64 v[6:7], v[6:7], v[8:9], v[6:7]
	v_fma_f64 v[8:9], -v[4:5], v[6:7], 1.0
	v_fma_f64 v[6:7], v[6:7], v[8:9], v[6:7]
	v_mul_f64 v[8:9], v[0:1], v[6:7]
	v_fma_f64 v[0:1], -v[4:5], v[8:9], v[0:1]
	v_mov_b32_e32 v4, 0xea87b950
	v_mov_b32_e32 v5, 0x3c545b8a
	v_div_fmas_f64 v[0:1], v[0:1], v[6:7], v[8:9]
	v_cmp_ngt_f64_e32 vcc, 0, v[2:3]
	v_div_fixup_f64 v[0:1], v[0:1], |v[2:3]|, s[0:1]
	s_mov_b32 s1, 0x3c61556d
	s_mov_b32 s0, 0xb352e8e6
	v_add_f64 v[0:1], v[0:1], -2.0
	v_fma_f64 v[4:5], v[0:1], s[0:1], v[4:5]
	s_mov_b32 s1, 0xbc61556d
	v_fma_f64 v[6:7], v[0:1], v[4:5], s[0:1]
	s_mov_b32 s0, 0xb2532277
	s_mov_b32 s1, 0xbc8acea3
	v_add_f64 v[6:7], v[6:7], s[0:1]
	s_mov_b32 s0, 0x9c773320
	s_mov_b32 s1, 0xbc82806c
	v_fma_f64 v[4:5], v[0:1], v[6:7], -v[4:5]
	v_add_f64 v[4:5], v[4:5], s[0:1]
	s_mov_b32 s0, 0xfceb588a
	s_mov_b32 s1, 0x3cb55915
	v_fma_f64 v[6:7], v[0:1], v[4:5], -v[6:7]
	;; [unrolled: 4-line block ×14, first 2 shown]
	v_add_f64 v[6:7], v[6:7], s[0:1]
	s_mov_b32 s0, 0x652b82fe
	s_mov_b32 s1, 0x3ff71547
	v_mul_f64 v[8:9], |v[2:3]|, s[0:1]
	s_mov_b32 s0, 0x5423dd80
	s_mov_b32 s1, 0xbe0334ca
	v_fma_f64 v[4:5], v[0:1], v[6:7], -v[4:5]
	v_rndne_f64_e32 v[8:9], v[8:9]
	v_add_f64 v[4:5], v[4:5], s[0:1]
	s_mov_b32 s0, 0xfefa39ef
	s_mov_b32 s1, 0xbfe62e42
	v_fma_f64 v[10:11], v[8:9], s[0:1], |v[2:3]|
	s_mov_b32 s0, 0x9ad53528
	s_mov_b32 s1, 0xbe30790b
	v_fma_f64 v[6:7], v[0:1], v[4:5], -v[6:7]
	v_add_f64 v[6:7], v[6:7], s[0:1]
	s_mov_b32 s0, 0x3b39803f
	s_mov_b32 s1, 0xbc7abc9e
	v_fma_f64 v[10:11], v[8:9], s[0:1], v[10:11]
	s_mov_b32 s0, 0x6a5dcb37
	s_mov_b32 s1, 0x3e5ade15
	v_cvt_i32_f64_e32 v8, v[8:9]
	v_fma_f64 v[4:5], v[0:1], v[6:7], -v[4:5]
	v_fma_f64 v[12:13], v[10:11], s[0:1], v[12:13]
	s_mov_b32 s0, 0x94bb46c1
	s_mov_b32 s1, 0xbe5c4153
	v_add_f64 v[4:5], v[4:5], s[0:1]
	s_mov_b32 s0, 0x623fde64
	s_mov_b32 s1, 0x3ec71dee
	v_fma_f64 v[12:13], v[10:11], v[12:13], s[0:1]
	s_mov_b32 s0, 0x7c89e6b0
	s_mov_b32 s1, 0x3efa0199
	v_fma_f64 v[6:7], v[0:1], v[4:5], -v[6:7]
	v_fma_f64 v[12:13], v[10:11], v[12:13], s[0:1]
	s_mov_b32 s0, 0x2e9e5443
	s_mov_b32 s1, 0xbe90dbfd
	v_add_f64 v[6:7], v[6:7], s[0:1]
	s_mov_b32 s0, 0x14761f6e
	s_mov_b32 s1, 0x3f2a01a0
	v_fma_f64 v[12:13], v[10:11], v[12:13], s[0:1]
	s_mov_b32 s0, 0x1852b7b0
	s_mov_b32 s1, 0x3f56c16c
	;; [unrolled: 10-line block ×4, first 2 shown]
	v_fma_f64 v[4:5], v[0:1], v[6:7], -v[4:5]
	v_fma_f64 v[12:13], v[10:11], v[12:13], s[0:1]
	s_mov_b32 s0, 0x53fcdb4c
	s_mov_b32 s1, 0xbf83fda0
	v_add_f64 v[4:5], v[4:5], s[0:1]
	s_mov_b32 s0, 0xb55b1514
	s_mov_b32 s1, 0x3fe8ea18
	v_fma_f64 v[12:13], v[10:11], v[12:13], 1.0
	v_fma_f64 v[0:1], v[0:1], v[4:5], -v[6:7]
	v_fma_f64 v[4:5], v[10:11], v[12:13], 1.0
	v_add_f64 v[0:1], v[0:1], s[0:1]
	s_mov_b32 s0, 0
	s_mov_b32 s1, 0x40900000
	v_ldexp_f64 v[4:5], v[4:5], v8
	v_cmp_ngt_f64_e64 s[0:1], |v[2:3]|, s[0:1]
	v_mov_b32_e32 v8, 0x7ff00000
	v_add_f64 v[6:7], v[0:1], -v[6:7]
                                        ; implicit-def: $vgpr0_vgpr1
	v_cndmask_b32_e64 v5, v8, v5, s[0:1]
	v_cndmask_b32_e64 v4, 0, v4, s[0:1]
	s_and_saveexec_b64 s[0:1], vcc
	s_xor_b64 s[0:1], exec, s[0:1]
	s_cbranch_execz .LBB8_952
; %bb.951:
	s_mov_b32 s20, 0
	s_brev_b32 s21, 8
	v_cmp_lt_f64_e64 vcc, |v[2:3]|, s[20:21]
	v_mov_b32_e32 v0, 0x100
	v_mul_f64 v[6:7], v[6:7], 0.5
	v_cndmask_b32_e32 v0, 0, v0, vcc
	v_ldexp_f64 v[0:1], |v[2:3]|, v0
	v_mul_f64 v[4:5], v[4:5], v[6:7]
	v_rsq_f64_e32 v[2:3], v[0:1]
	v_mul_f64 v[8:9], v[0:1], v[2:3]
	v_mul_f64 v[2:3], v[2:3], 0.5
	v_fma_f64 v[10:11], -v[2:3], v[8:9], 0.5
	v_fma_f64 v[8:9], v[8:9], v[10:11], v[8:9]
	v_fma_f64 v[2:3], v[2:3], v[10:11], v[2:3]
	v_fma_f64 v[10:11], -v[8:9], v[8:9], v[0:1]
	v_fma_f64 v[8:9], v[10:11], v[2:3], v[8:9]
	v_fma_f64 v[10:11], -v[8:9], v[8:9], v[0:1]
	v_fma_f64 v[2:3], v[10:11], v[2:3], v[8:9]
	v_mov_b32_e32 v8, 0xffffff80
	v_mov_b32_e32 v9, 0x260
	v_cndmask_b32_e32 v8, 0, v8, vcc
	v_cmp_class_f64_e32 vcc, v[0:1], v9
	v_ldexp_f64 v[2:3], v[2:3], v8
	v_cndmask_b32_e32 v1, v3, v1, vcc
	v_cndmask_b32_e32 v0, v2, v0, vcc
	v_div_scale_f64 v[2:3], s[20:21], v[0:1], v[0:1], v[4:5]
	v_div_scale_f64 v[10:11], vcc, v[4:5], v[0:1], v[4:5]
	v_rcp_f64_e32 v[6:7], v[2:3]
	v_fma_f64 v[8:9], -v[2:3], v[6:7], 1.0
	v_fma_f64 v[6:7], v[6:7], v[8:9], v[6:7]
	v_fma_f64 v[8:9], -v[2:3], v[6:7], 1.0
	v_fma_f64 v[6:7], v[6:7], v[8:9], v[6:7]
	v_mul_f64 v[8:9], v[10:11], v[6:7]
	v_fma_f64 v[2:3], -v[2:3], v[8:9], v[10:11]
	v_div_fmas_f64 v[2:3], v[2:3], v[6:7], v[8:9]
                                        ; implicit-def: $vgpr6_vgpr7
	v_div_fixup_f64 v[0:1], v[2:3], v[0:1], v[4:5]
                                        ; implicit-def: $vgpr2_vgpr3
                                        ; implicit-def: $vgpr4_vgpr5
.LBB8_952:
	s_andn2_saveexec_b64 s[0:1], s[0:1]
	s_cbranch_execz .LBB8_954
; %bb.953:
	s_mov_b32 s20, 0
	s_brev_b32 s21, 8
	v_cmp_lt_f64_e64 vcc, |v[2:3]|, s[20:21]
	v_mov_b32_e32 v0, 0x100
	v_mul_f64 v[6:7], v[6:7], -0.5
	v_cndmask_b32_e32 v0, 0, v0, vcc
	v_ldexp_f64 v[0:1], |v[2:3]|, v0
	v_mul_f64 v[4:5], v[4:5], v[6:7]
	v_rsq_f64_e32 v[2:3], v[0:1]
	v_mul_f64 v[8:9], v[0:1], v[2:3]
	v_mul_f64 v[2:3], v[2:3], 0.5
	v_fma_f64 v[10:11], -v[2:3], v[8:9], 0.5
	v_fma_f64 v[8:9], v[8:9], v[10:11], v[8:9]
	v_fma_f64 v[2:3], v[2:3], v[10:11], v[2:3]
	v_fma_f64 v[10:11], -v[8:9], v[8:9], v[0:1]
	v_fma_f64 v[8:9], v[10:11], v[2:3], v[8:9]
	v_fma_f64 v[10:11], -v[8:9], v[8:9], v[0:1]
	v_fma_f64 v[2:3], v[10:11], v[2:3], v[8:9]
	v_mov_b32_e32 v8, 0xffffff80
	v_mov_b32_e32 v9, 0x260
	v_cndmask_b32_e32 v8, 0, v8, vcc
	v_cmp_class_f64_e32 vcc, v[0:1], v9
	v_ldexp_f64 v[2:3], v[2:3], v8
	v_cndmask_b32_e32 v1, v3, v1, vcc
	v_cndmask_b32_e32 v0, v2, v0, vcc
	v_div_scale_f64 v[2:3], s[20:21], v[0:1], v[0:1], v[4:5]
	v_div_scale_f64 v[10:11], vcc, v[4:5], v[0:1], v[4:5]
	v_rcp_f64_e32 v[6:7], v[2:3]
	v_fma_f64 v[8:9], -v[2:3], v[6:7], 1.0
	v_fma_f64 v[6:7], v[6:7], v[8:9], v[6:7]
	v_fma_f64 v[8:9], -v[2:3], v[6:7], 1.0
	v_fma_f64 v[6:7], v[6:7], v[8:9], v[6:7]
	v_mul_f64 v[8:9], v[10:11], v[6:7]
	v_fma_f64 v[2:3], -v[2:3], v[8:9], v[10:11]
	v_div_fmas_f64 v[2:3], v[2:3], v[6:7], v[8:9]
	v_div_fixup_f64 v[0:1], v[2:3], v[0:1], v[4:5]
.LBB8_954:
	s_or_b64 exec, exec, s[0:1]
.LBB8_955:
	s_or_b64 exec, exec, s[18:19]
	v_mul_lo_u32 v2, v14, s2
	v_mov_b32_e32 v3, s9
	s_and_b32 s26, s33, 0xff
	s_cmp_lt_i32 s26, 11
	v_ashrrev_i32_e32 v5, 31, v2
	v_add_co_u32_e32 v4, vcc, s8, v2
	v_addc_co_u32_e32 v5, vcc, v3, v5, vcc
	s_cbranch_scc1 .LBB8_965
; %bb.956:
	s_and_b32 s27, 0xffff, s26
	s_mov_b64 s[20:21], -1
	s_cmp_gt_i32 s27, 25
	s_mov_b64 s[0:1], s[6:7]
	s_cbranch_scc0 .LBB8_993
; %bb.957:
	s_mov_b64 s[18:19], -1
	s_cmp_gt_i32 s27, 28
	s_mov_b64 s[0:1], s[6:7]
	s_cbranch_scc0 .LBB8_977
; %bb.958:
	s_cmp_gt_i32 s27, 43
	s_mov_b64 s[0:1], s[6:7]
	s_cbranch_scc0 .LBB8_973
; %bb.959:
	;; [unrolled: 4-line block ×3, first 2 shown]
	s_cmp_eq_u32 s27, 46
	s_mov_b64 s[0:1], -1
	s_cbranch_scc0 .LBB8_966
; %bb.961:
	v_cvt_f32_f64_e32 v2, v[0:1]
	s_movk_i32 s0, 0x7fff
	v_mov_b32_e32 v3, 0x7fc0
	s_mov_b64 s[18:19], 0
	v_bfe_u32 v6, v2, 16, 1
	v_cmp_o_f32_e32 vcc, v2, v2
	v_add3_u32 v2, v2, v6, s0
	v_cndmask_b32_sdwa v2, v3, v2, vcc dst_sel:DWORD dst_unused:UNUSED_PAD src0_sel:DWORD src1_sel:WORD_1
	global_store_dword v[4:5], v2, off
	s_mov_b64 s[0:1], 0
	s_branch .LBB8_967
.LBB8_962:
	s_or_b64 exec, exec, s[14:15]
	s_and_saveexec_b64 s[0:1], s[6:7]
	s_cbranch_execnz .LBB8_1035
.LBB8_963:
	s_or_b64 exec, exec, s[0:1]
	s_and_saveexec_b64 s[0:1], s[20:21]
	s_xor_b64 s[0:1], exec, s[0:1]
	s_cbranch_execz .LBB8_1036
.LBB8_964:
	v_cmp_neq_f64_e32 vcc, 0, v[0:1]
	s_waitcnt vmcnt(0)
	v_cndmask_b32_e64 v2, 0, 1, vcc
	global_store_byte v[4:5], v2, off
	s_or_b64 exec, exec, s[0:1]
	s_and_saveexec_b64 s[0:1], s[18:19]
	s_xor_b64 s[0:1], exec, s[0:1]
	s_cbranch_execz .LBB8_1074
	s_branch .LBB8_1037
.LBB8_965:
	s_mov_b64 s[20:21], 0
	s_mov_b64 s[18:19], -1
	s_mov_b64 s[0:1], s[6:7]
	s_branch .LBB8_1034
.LBB8_966:
	s_mov_b64 s[18:19], 0
.LBB8_967:
	s_and_b64 vcc, exec, s[18:19]
	s_cbranch_vccz .LBB8_972
; %bb.968:
	s_cmp_eq_u32 s27, 44
	s_mov_b64 s[0:1], -1
	s_cbranch_scc0 .LBB8_972
; %bb.969:
	v_cvt_f32_f64_e32 v2, v[0:1]
	s_movk_i32 s0, 0xff
	v_mov_b32_e32 v6, 0xff
	v_bfe_u32 v3, v2, 23, 8
	v_cmp_ne_u32_e32 vcc, s0, v3
	s_and_saveexec_b64 s[18:19], vcc
; %bb.970:
	s_mov_b32 s0, 0x3fffff
	v_lshrrev_b32_e32 v6, 23, v2
	v_and_b32_e32 v7, 0x400000, v2
	v_and_or_b32 v2, v2, s0, v3
	v_cmp_ne_u32_e32 vcc, 0, v7
	v_cmp_ne_u32_e64 s[0:1], 0, v2
	s_and_b64 s[0:1], vcc, s[0:1]
	v_cndmask_b32_e64 v2, 0, 1, s[0:1]
	v_add_u32_e32 v6, v6, v2
; %bb.971:
	s_or_b64 exec, exec, s[18:19]
	s_mov_b64 s[0:1], 0
	global_store_byte v[4:5], v6, off
.LBB8_972:
	s_mov_b64 s[18:19], 0
.LBB8_973:
	s_and_b64 vcc, exec, s[18:19]
	s_cbranch_vccz .LBB8_976
; %bb.974:
	s_cmp_eq_u32 s27, 29
	s_mov_b64 s[0:1], -1
	s_cbranch_scc0 .LBB8_976
; %bb.975:
	v_trunc_f64_e32 v[2:3], v[0:1]
	s_movk_i32 s0, 0xffe0
	s_mov_b64 s[18:19], 0
	v_ldexp_f64 v[6:7], v[2:3], s0
	s_mov_b32 s0, 0
	s_mov_b32 s1, 0xc1f00000
	v_floor_f64_e32 v[6:7], v[6:7]
	v_fma_f64 v[2:3], v[6:7], s[0:1], v[2:3]
	v_cvt_u32_f64_e32 v7, v[6:7]
	s_mov_b64 s[0:1], 0
	v_cvt_u32_f64_e32 v6, v[2:3]
	global_store_dwordx2 v[4:5], v[6:7], off
	s_branch .LBB8_977
.LBB8_976:
	s_mov_b64 s[18:19], 0
.LBB8_977:
	s_and_b64 vcc, exec, s[18:19]
	s_cbranch_vccz .LBB8_992
; %bb.978:
	s_cmp_lt_i32 s27, 27
	s_mov_b64 s[18:19], -1
	s_cbranch_scc1 .LBB8_984
; %bb.979:
	v_cvt_u32_f64_e32 v2, v[0:1]
	s_cmp_gt_i32 s27, 27
	s_cbranch_scc0 .LBB8_981
; %bb.980:
	s_mov_b64 s[18:19], 0
	global_store_dword v[4:5], v2, off
.LBB8_981:
	s_andn2_b64 vcc, exec, s[18:19]
	s_cbranch_vccnz .LBB8_983
; %bb.982:
	global_store_short v[4:5], v2, off
.LBB8_983:
	s_mov_b64 s[18:19], 0
.LBB8_984:
	s_andn2_b64 vcc, exec, s[18:19]
	s_cbranch_vccnz .LBB8_992
; %bb.985:
	v_cvt_f32_f64_e32 v2, v[0:1]
	s_mov_b32 s18, 0x43800000
	v_mov_b32_e32 v6, 0x80
	v_and_b32_e32 v3, 0x7fffffff, v2
	v_cmp_gt_u32_e32 vcc, s18, v3
	s_and_saveexec_b64 s[18:19], vcc
	s_cbranch_execz .LBB8_991
; %bb.986:
	s_mov_b32 s20, 0x3bffffff
	v_cmp_lt_u32_e32 vcc, s20, v3
	s_mov_b64 s[20:21], 0
                                        ; implicit-def: $vgpr3
	s_and_saveexec_b64 s[22:23], vcc
	s_xor_b64 s[22:23], exec, s[22:23]
	s_cbranch_execz .LBB8_1089
; %bb.987:
	v_bfe_u32 v3, v2, 20, 1
	s_mov_b32 s24, 0x487ffff
	v_add3_u32 v3, v2, v3, s24
	s_mov_b64 s[20:21], exec
	v_lshrrev_b32_e32 v3, 20, v3
	s_andn2_saveexec_b64 s[22:23], s[22:23]
	s_cbranch_execnz .LBB8_1090
.LBB8_988:
	s_or_b64 exec, exec, s[22:23]
	v_mov_b32_e32 v6, 0
	s_and_saveexec_b64 s[22:23], s[20:21]
.LBB8_989:
	v_lshrrev_b32_e32 v2, 24, v2
	s_movk_i32 s20, 0x80
	v_and_or_b32 v6, v2, s20, v3
.LBB8_990:
	s_or_b64 exec, exec, s[22:23]
.LBB8_991:
	s_or_b64 exec, exec, s[18:19]
	global_store_byte v[4:5], v6, off
.LBB8_992:
	s_mov_b64 s[20:21], 0
.LBB8_993:
	s_mov_b64 s[18:19], 0
	s_and_b64 vcc, exec, s[20:21]
	s_cbranch_vccz .LBB8_1033
; %bb.994:
	s_cmp_gt_i32 s27, 22
	s_mov_b64 s[20:21], -1
	s_cbranch_scc0 .LBB8_1026
; %bb.995:
	s_cmp_lt_i32 s27, 24
	s_cbranch_scc1 .LBB8_1015
; %bb.996:
	s_cmp_gt_i32 s27, 24
	s_cbranch_scc0 .LBB8_1004
; %bb.997:
	v_cvt_f32_f64_e32 v2, v[0:1]
	s_mov_b32 s20, 0x47800000
	v_mov_b32_e32 v6, 0x80
	v_and_b32_e32 v3, 0x7fffffff, v2
	v_cmp_gt_u32_e32 vcc, s20, v3
	s_and_saveexec_b64 s[20:21], vcc
	s_cbranch_execz .LBB8_1003
; %bb.998:
	s_mov_b32 s22, 0x37ffffff
	v_cmp_lt_u32_e32 vcc, s22, v3
	s_mov_b64 s[22:23], 0
                                        ; implicit-def: $vgpr3
	s_and_saveexec_b64 s[24:25], vcc
	s_xor_b64 s[24:25], exec, s[24:25]
	s_cbranch_execz .LBB8_1226
; %bb.999:
	v_bfe_u32 v3, v2, 21, 1
	s_mov_b32 s28, 0x88fffff
	v_add3_u32 v3, v2, v3, s28
	s_mov_b64 s[22:23], exec
	v_lshrrev_b32_e32 v3, 21, v3
	s_andn2_saveexec_b64 s[24:25], s[24:25]
	s_cbranch_execnz .LBB8_1227
.LBB8_1000:
	s_or_b64 exec, exec, s[24:25]
	v_mov_b32_e32 v6, 0
	s_and_saveexec_b64 s[24:25], s[22:23]
.LBB8_1001:
	v_lshrrev_b32_e32 v2, 24, v2
	s_movk_i32 s22, 0x80
	v_and_or_b32 v6, v2, s22, v3
.LBB8_1002:
	s_or_b64 exec, exec, s[24:25]
.LBB8_1003:
	s_or_b64 exec, exec, s[20:21]
	s_mov_b64 s[20:21], 0
	global_store_byte v[4:5], v6, off
.LBB8_1004:
	s_and_b64 vcc, exec, s[20:21]
	s_cbranch_vccz .LBB8_1014
; %bb.1005:
	v_cvt_f32_f64_e32 v2, v[0:1]
	s_mov_b32 s20, 0x43f00000
                                        ; implicit-def: $vgpr3
	v_and_b32_e32 v6, 0x7fffffff, v2
	v_cmp_gt_u32_e32 vcc, s20, v6
	s_and_saveexec_b64 s[20:21], vcc
	s_xor_b64 s[20:21], exec, s[20:21]
	s_cbranch_execz .LBB8_1011
; %bb.1006:
	s_mov_b32 s22, 0x3c7fffff
	v_cmp_lt_u32_e32 vcc, s22, v6
                                        ; implicit-def: $vgpr3
	s_and_saveexec_b64 s[22:23], vcc
	s_xor_b64 s[22:23], exec, s[22:23]
; %bb.1007:
	v_bfe_u32 v3, v2, 20, 1
	s_mov_b32 s24, 0x407ffff
	v_add3_u32 v3, v2, v3, s24
	v_lshrrev_b32_e32 v6, 20, v3
	v_and_b32_e32 v3, 0xff00000, v3
	s_mov_b32 s24, 0x7f00000
	v_mov_b32_e32 v7, 0x7e
	v_cmp_ne_u32_e32 vcc, s24, v3
	v_cndmask_b32_e32 v3, v7, v6, vcc
; %bb.1008:
	s_andn2_saveexec_b64 s[22:23], s[22:23]
; %bb.1009:
	s_mov_b32 s24, 0x46800000
	v_add_f32_e64 v3, |v2|, s24
; %bb.1010:
	s_or_b64 exec, exec, s[22:23]
                                        ; implicit-def: $vgpr6
.LBB8_1011:
	s_andn2_saveexec_b64 s[20:21], s[20:21]
; %bb.1012:
	s_mov_b32 s22, 0x7f800000
	v_mov_b32_e32 v3, 0x7e
	v_mov_b32_e32 v7, 0x7f
	v_cmp_lt_u32_e32 vcc, s22, v6
	v_cndmask_b32_e32 v3, v3, v7, vcc
; %bb.1013:
	s_or_b64 exec, exec, s[20:21]
	v_lshrrev_b32_e32 v2, 24, v2
	s_movk_i32 s20, 0x80
	v_and_or_b32 v2, v2, s20, v3
	global_store_byte v[4:5], v2, off
.LBB8_1014:
	s_mov_b64 s[20:21], 0
.LBB8_1015:
	s_andn2_b64 vcc, exec, s[20:21]
	s_cbranch_vccnz .LBB8_1025
; %bb.1016:
	v_cvt_f32_f64_e32 v2, v[0:1]
	s_mov_b32 s20, 0x47800000
                                        ; implicit-def: $vgpr3
	v_and_b32_e32 v6, 0x7fffffff, v2
	v_cmp_gt_u32_e32 vcc, s20, v6
	s_and_saveexec_b64 s[20:21], vcc
	s_xor_b64 s[20:21], exec, s[20:21]
	s_cbranch_execz .LBB8_1022
; %bb.1017:
	s_mov_b32 s22, 0x387fffff
	v_cmp_lt_u32_e32 vcc, s22, v6
                                        ; implicit-def: $vgpr3
	s_and_saveexec_b64 s[22:23], vcc
	s_xor_b64 s[22:23], exec, s[22:23]
; %bb.1018:
	v_bfe_u32 v3, v2, 21, 1
	s_mov_b32 s24, 0x80fffff
	v_add3_u32 v3, v2, v3, s24
	v_lshrrev_b32_e32 v3, 21, v3
; %bb.1019:
	s_andn2_saveexec_b64 s[22:23], s[22:23]
; %bb.1020:
	s_mov_b32 s24, 0x43000000
	v_add_f32_e64 v3, |v2|, s24
; %bb.1021:
	s_or_b64 exec, exec, s[22:23]
                                        ; implicit-def: $vgpr6
.LBB8_1022:
	s_andn2_saveexec_b64 s[20:21], s[20:21]
; %bb.1023:
	s_mov_b32 s22, 0x7f800000
	v_mov_b32_e32 v3, 0x7c
	v_mov_b32_e32 v7, 0x7f
	v_cmp_lt_u32_e32 vcc, s22, v6
	v_cndmask_b32_e32 v3, v3, v7, vcc
; %bb.1024:
	s_or_b64 exec, exec, s[20:21]
	v_lshrrev_b32_e32 v2, 24, v2
	s_movk_i32 s20, 0x80
	v_and_or_b32 v2, v2, s20, v3
	global_store_byte v[4:5], v2, off
.LBB8_1025:
	s_mov_b64 s[20:21], 0
.LBB8_1026:
	s_andn2_b64 vcc, exec, s[20:21]
	s_mov_b64 s[20:21], 0
	s_cbranch_vccnz .LBB8_1034
; %bb.1027:
	s_cmp_gt_i32 s27, 14
	s_mov_b64 s[22:23], -1
	s_cbranch_scc0 .LBB8_1031
; %bb.1028:
	s_cmp_eq_u32 s27, 15
	s_mov_b64 s[0:1], -1
	s_cbranch_scc0 .LBB8_1030
; %bb.1029:
	v_cvt_f32_f64_e32 v2, v[0:1]
	s_movk_i32 s0, 0x7fff
	v_mov_b32_e32 v3, 0x7fc0
	v_bfe_u32 v6, v2, 16, 1
	v_cmp_o_f32_e32 vcc, v2, v2
	v_add3_u32 v2, v2, v6, s0
	v_cndmask_b32_sdwa v2, v3, v2, vcc dst_sel:DWORD dst_unused:UNUSED_PAD src0_sel:DWORD src1_sel:WORD_1
	global_store_short v[4:5], v2, off
	s_mov_b64 s[0:1], 0
.LBB8_1030:
	s_mov_b64 s[22:23], 0
.LBB8_1031:
	s_and_b64 vcc, exec, s[22:23]
	s_cbranch_vccz .LBB8_1034
; %bb.1032:
	s_cmp_lg_u32 s27, 11
	s_cselect_b64 s[22:23], -1, 0
	s_andn2_b64 s[0:1], s[0:1], exec
	s_and_b64 s[22:23], s[22:23], exec
	s_mov_b64 s[20:21], -1
	s_or_b64 s[0:1], s[0:1], s[22:23]
	s_branch .LBB8_1034
.LBB8_1033:
	s_mov_b64 s[20:21], 0
.LBB8_1034:
	s_andn2_b64 s[6:7], s[6:7], exec
	s_and_b64 s[0:1], s[0:1], exec
	s_and_b64 s[18:19], s[18:19], exec
	;; [unrolled: 1-line block ×3, first 2 shown]
	s_or_b64 s[6:7], s[6:7], s[0:1]
	s_or_b64 exec, exec, s[14:15]
	s_and_saveexec_b64 s[0:1], s[6:7]
	s_cbranch_execz .LBB8_963
.LBB8_1035:
	s_or_b64 s[16:17], s[16:17], exec
	s_andn2_b64 s[20:21], s[20:21], exec
	s_trap 2
	s_or_b64 exec, exec, s[0:1]
	s_and_saveexec_b64 s[0:1], s[20:21]
	s_xor_b64 s[0:1], exec, s[0:1]
	s_cbranch_execnz .LBB8_964
.LBB8_1036:
	s_or_b64 exec, exec, s[0:1]
	s_and_saveexec_b64 s[0:1], s[18:19]
	s_xor_b64 s[0:1], exec, s[0:1]
	s_cbranch_execz .LBB8_1074
.LBB8_1037:
	s_sext_i32_i16 s14, s26
	s_cmp_lt_i32 s14, 5
	s_mov_b64 s[6:7], -1
	s_cbranch_scc1 .LBB8_1058
; %bb.1038:
	s_cmp_lt_i32 s14, 8
	s_cbranch_scc1 .LBB8_1048
; %bb.1039:
	s_cmp_lt_i32 s14, 9
	s_cbranch_scc1 .LBB8_1045
; %bb.1040:
	s_cmp_gt_i32 s14, 9
	s_cbranch_scc0 .LBB8_1042
; %bb.1041:
	s_waitcnt vmcnt(0)
	v_mov_b32_e32 v2, 0
	v_mov_b32_e32 v3, v2
	s_mov_b64 s[6:7], 0
	global_store_dwordx4 v[4:5], v[0:3], off
.LBB8_1042:
	s_andn2_b64 vcc, exec, s[6:7]
	s_cbranch_vccnz .LBB8_1044
; %bb.1043:
	s_waitcnt vmcnt(0)
	v_cvt_f32_f64_e32 v2, v[0:1]
	v_mov_b32_e32 v3, 0
	global_store_dwordx2 v[4:5], v[2:3], off
.LBB8_1044:
	s_mov_b64 s[6:7], 0
.LBB8_1045:
	s_andn2_b64 vcc, exec, s[6:7]
	s_cbranch_vccnz .LBB8_1047
; %bb.1046:
	s_movk_i32 s6, 0x1ff
	s_waitcnt vmcnt(0)
	v_and_or_b32 v2, v1, s6, v0
	v_cmp_ne_u32_e32 vcc, 0, v2
	v_cndmask_b32_e64 v2, 0, 1, vcc
	v_lshrrev_b32_e32 v3, 8, v1
	s_movk_i32 s6, 0xffe
	v_bfe_u32 v6, v1, 20, 11
	v_and_or_b32 v2, v3, s6, v2
	v_sub_u32_e32 v7, 0x3f1, v6
	v_or_b32_e32 v3, 0x1000, v2
	v_med3_i32 v7, v7, 0, 13
	v_lshrrev_b32_e32 v8, v7, v3
	v_lshlrev_b32_e32 v7, v7, v8
	v_cmp_ne_u32_e32 vcc, v7, v3
	v_cndmask_b32_e64 v3, 0, 1, vcc
	v_add_u32_e32 v6, 0xfffffc10, v6
	v_or_b32_e32 v3, v8, v3
	v_lshl_or_b32 v7, v6, 12, v2
	v_cmp_gt_i32_e32 vcc, 1, v6
	v_cndmask_b32_e32 v3, v7, v3, vcc
	v_and_b32_e32 v7, 7, v3
	v_cmp_lt_i32_e32 vcc, 5, v7
	v_cndmask_b32_e64 v8, 0, 1, vcc
	v_cmp_eq_u32_e32 vcc, 3, v7
	v_cndmask_b32_e64 v7, 0, 1, vcc
	v_or_b32_e32 v7, v7, v8
	v_lshrrev_b32_e32 v3, 2, v3
	v_add_u32_e32 v3, v3, v7
	v_mov_b32_e32 v7, 0x7c00
	v_cmp_gt_i32_e32 vcc, 31, v6
	v_cndmask_b32_e32 v3, v7, v3, vcc
	v_mov_b32_e32 v8, 0x7e00
	v_cmp_ne_u32_e32 vcc, 0, v2
	s_movk_i32 s6, 0x40f
	v_cndmask_b32_e32 v2, v7, v8, vcc
	v_cmp_eq_u32_e32 vcc, s6, v6
	v_cndmask_b32_e32 v2, v3, v2, vcc
	v_lshrrev_b32_e32 v3, 16, v1
	s_mov_b32 s6, 0x8000
	v_and_or_b32 v2, v3, s6, v2
	v_and_b32_e32 v2, 0xffff, v2
	global_store_dword v[4:5], v2, off
.LBB8_1047:
	s_mov_b64 s[6:7], 0
.LBB8_1048:
	s_andn2_b64 vcc, exec, s[6:7]
	s_cbranch_vccnz .LBB8_1057
; %bb.1049:
	s_sext_i32_i16 s14, s26
	s_cmp_lt_i32 s14, 6
	s_mov_b64 s[6:7], -1
	s_cbranch_scc1 .LBB8_1055
; %bb.1050:
	s_cmp_gt_i32 s14, 6
	s_cbranch_scc0 .LBB8_1052
; %bb.1051:
	s_mov_b64 s[6:7], 0
	global_store_dwordx2 v[4:5], v[0:1], off
.LBB8_1052:
	s_andn2_b64 vcc, exec, s[6:7]
	s_cbranch_vccnz .LBB8_1054
; %bb.1053:
	s_waitcnt vmcnt(0)
	v_cvt_f32_f64_e32 v2, v[0:1]
	global_store_dword v[4:5], v2, off
.LBB8_1054:
	s_mov_b64 s[6:7], 0
.LBB8_1055:
	s_andn2_b64 vcc, exec, s[6:7]
	s_cbranch_vccnz .LBB8_1057
; %bb.1056:
	s_movk_i32 s6, 0x1ff
	s_waitcnt vmcnt(0)
	v_and_or_b32 v2, v1, s6, v0
	v_cmp_ne_u32_e32 vcc, 0, v2
	v_cndmask_b32_e64 v2, 0, 1, vcc
	v_lshrrev_b32_e32 v3, 8, v1
	s_movk_i32 s6, 0xffe
	v_bfe_u32 v6, v1, 20, 11
	v_and_or_b32 v2, v3, s6, v2
	v_sub_u32_e32 v7, 0x3f1, v6
	v_or_b32_e32 v3, 0x1000, v2
	v_med3_i32 v7, v7, 0, 13
	v_lshrrev_b32_e32 v8, v7, v3
	v_lshlrev_b32_e32 v7, v7, v8
	v_cmp_ne_u32_e32 vcc, v7, v3
	v_cndmask_b32_e64 v3, 0, 1, vcc
	v_add_u32_e32 v6, 0xfffffc10, v6
	v_or_b32_e32 v3, v8, v3
	v_lshl_or_b32 v7, v6, 12, v2
	v_cmp_gt_i32_e32 vcc, 1, v6
	v_cndmask_b32_e32 v3, v7, v3, vcc
	v_and_b32_e32 v7, 7, v3
	v_cmp_lt_i32_e32 vcc, 5, v7
	v_cndmask_b32_e64 v8, 0, 1, vcc
	v_cmp_eq_u32_e32 vcc, 3, v7
	v_cndmask_b32_e64 v7, 0, 1, vcc
	v_or_b32_e32 v7, v7, v8
	v_lshrrev_b32_e32 v3, 2, v3
	v_add_u32_e32 v3, v3, v7
	v_mov_b32_e32 v7, 0x7c00
	v_cmp_gt_i32_e32 vcc, 31, v6
	v_cndmask_b32_e32 v3, v7, v3, vcc
	v_mov_b32_e32 v8, 0x7e00
	v_cmp_ne_u32_e32 vcc, 0, v2
	s_movk_i32 s6, 0x40f
	v_cndmask_b32_e32 v2, v7, v8, vcc
	v_cmp_eq_u32_e32 vcc, s6, v6
	v_cndmask_b32_e32 v2, v3, v2, vcc
	v_lshrrev_b32_e32 v3, 16, v1
	s_mov_b32 s6, 0x8000
	v_and_or_b32 v2, v3, s6, v2
	global_store_short v[4:5], v2, off
.LBB8_1057:
	s_mov_b64 s[6:7], 0
.LBB8_1058:
	s_andn2_b64 vcc, exec, s[6:7]
	s_cbranch_vccnz .LBB8_1074
; %bb.1059:
	s_sext_i32_i16 s14, s26
	s_cmp_lt_i32 s14, 2
	s_mov_b64 s[6:7], -1
	s_cbranch_scc1 .LBB8_1069
; %bb.1060:
	s_cmp_lt_i32 s14, 3
	s_cbranch_scc1 .LBB8_1066
; %bb.1061:
	s_cmp_gt_i32 s14, 3
	s_cbranch_scc0 .LBB8_1063
; %bb.1062:
	s_waitcnt vmcnt(0)
	v_trunc_f64_e32 v[2:3], v[0:1]
	s_movk_i32 s6, 0xffe0
	v_ldexp_f64 v[6:7], v[2:3], s6
	s_mov_b32 s6, 0
	s_mov_b32 s7, 0xc1f00000
	v_floor_f64_e32 v[6:7], v[6:7]
	v_fma_f64 v[2:3], v[6:7], s[6:7], v[2:3]
	v_cvt_i32_f64_e32 v7, v[6:7]
	s_mov_b64 s[6:7], 0
	v_cvt_u32_f64_e32 v6, v[2:3]
	global_store_dwordx2 v[4:5], v[6:7], off
.LBB8_1063:
	s_andn2_b64 vcc, exec, s[6:7]
	s_cbranch_vccnz .LBB8_1065
; %bb.1064:
	s_waitcnt vmcnt(0)
	v_cvt_i32_f64_e32 v2, v[0:1]
	global_store_dword v[4:5], v2, off
.LBB8_1065:
	s_mov_b64 s[6:7], 0
.LBB8_1066:
	s_andn2_b64 vcc, exec, s[6:7]
	s_cbranch_vccnz .LBB8_1068
; %bb.1067:
	s_waitcnt vmcnt(0)
	v_cvt_i32_f64_e32 v2, v[0:1]
	global_store_short v[4:5], v2, off
.LBB8_1068:
	s_mov_b64 s[6:7], 0
.LBB8_1069:
	s_andn2_b64 vcc, exec, s[6:7]
	s_cbranch_vccnz .LBB8_1074
; %bb.1070:
	s_sext_i32_i16 s6, s26
	s_cmp_gt_i32 s6, 0
	s_mov_b64 s[6:7], -1
	s_cbranch_scc0 .LBB8_1072
; %bb.1071:
	s_waitcnt vmcnt(0)
	v_cvt_i32_f64_e32 v2, v[0:1]
	s_mov_b64 s[6:7], 0
	global_store_byte v[4:5], v2, off
.LBB8_1072:
	s_andn2_b64 vcc, exec, s[6:7]
	s_cbranch_vccnz .LBB8_1074
; %bb.1073:
	v_trunc_f64_e32 v[0:1], v[0:1]
	s_movk_i32 s6, 0xffe0
	s_waitcnt vmcnt(0)
	v_ldexp_f64 v[2:3], v[0:1], s6
	s_mov_b32 s6, 0
	s_mov_b32 s7, 0xc1f00000
	v_floor_f64_e32 v[2:3], v[2:3]
	v_fma_f64 v[0:1], v[2:3], s[6:7], v[0:1]
	v_cvt_u32_f64_e32 v0, v[0:1]
	global_store_byte v[4:5], v0, off
.LBB8_1074:
	s_or_b64 exec, exec, s[0:1]
	s_and_b64 s[6:7], s[16:17], exec
                                        ; implicit-def: $vgpr14
.LBB8_1075:
	s_or_saveexec_b64 s[4:5], s[4:5]
	s_mov_b64 s[0:1], 0
                                        ; implicit-def: $sgpr20
                                        ; implicit-def: $vgpr0_vgpr1
                                        ; implicit-def: $vgpr12_vgpr13
	s_xor_b64 exec, exec, s[4:5]
	s_cbranch_execz .LBB8_1717
; %bb.1076:
	v_mul_lo_u32 v8, s3, v14
	v_mov_b32_e32 v1, s11
	s_and_b32 s22, 0xffff, s42
	s_cmp_lt_i32 s22, 11
	s_waitcnt vmcnt(0)
	v_ashrrev_i32_e32 v2, 31, v8
	v_add_co_u32_e32 v0, vcc, s10, v8
	v_addc_co_u32_e32 v1, vcc, v1, v2, vcc
	s_cbranch_scc1 .LBB8_1083
; %bb.1077:
	s_cmp_gt_i32 s22, 25
	s_cbranch_scc0 .LBB8_1085
; %bb.1078:
	s_cmp_gt_i32 s22, 28
	s_cbranch_scc0 .LBB8_1086
	;; [unrolled: 3-line block ×4, first 2 shown]
; %bb.1081:
	s_cmp_eq_u32 s22, 46
	s_mov_b64 s[14:15], 0
	s_cbranch_scc0 .LBB8_1091
; %bb.1082:
	global_load_dword v2, v[0:1], off
	s_mov_b64 s[16:17], -1
	s_waitcnt vmcnt(0)
	v_lshlrev_b32_e32 v2, 16, v2
	v_cvt_f64_f32_e32 v[2:3], v2
	s_branch .LBB8_1092
.LBB8_1083:
	s_mov_b64 s[16:17], 0
                                        ; implicit-def: $vgpr2_vgpr3
	s_mov_b64 s[14:15], s[6:7]
	s_cbranch_execnz .LBB8_1155
.LBB8_1084:
	s_andn2_b64 vcc, exec, s[16:17]
	s_cbranch_vccz .LBB8_1200
	s_branch .LBB8_1714
.LBB8_1085:
	s_mov_b64 s[16:17], 0
                                        ; implicit-def: $vgpr2_vgpr3
	s_cbranch_execnz .LBB8_1122
	s_branch .LBB8_1151
.LBB8_1086:
	s_mov_b64 s[14:15], -1
	s_mov_b64 s[16:17], 0
                                        ; implicit-def: $vgpr2_vgpr3
	s_branch .LBB8_1101
.LBB8_1087:
	s_mov_b64 s[16:17], 0
                                        ; implicit-def: $vgpr2_vgpr3
	s_cbranch_execnz .LBB8_1097
	s_branch .LBB8_1100
.LBB8_1088:
	s_mov_b64 s[14:15], -1
	s_mov_b64 s[16:17], 0
                                        ; implicit-def: $vgpr2_vgpr3
	s_branch .LBB8_1092
.LBB8_1089:
	s_andn2_saveexec_b64 s[22:23], s[22:23]
	s_cbranch_execz .LBB8_988
.LBB8_1090:
	s_mov_b32 s24, 0x46000000
	v_add_f32_e64 v3, |v2|, s24
	v_and_b32_e32 v3, 0xff, v3
	v_cmp_ne_u32_e32 vcc, 0, v3
	s_andn2_b64 s[20:21], s[20:21], exec
	s_and_b64 s[24:25], vcc, exec
	s_or_b64 s[20:21], s[20:21], s[24:25]
	s_or_b64 exec, exec, s[22:23]
	v_mov_b32_e32 v6, 0
	s_and_saveexec_b64 s[22:23], s[20:21]
	s_cbranch_execnz .LBB8_989
	s_branch .LBB8_990
.LBB8_1091:
	s_mov_b64 s[0:1], -1
                                        ; implicit-def: $vgpr2_vgpr3
	s_mov_b64 s[16:17], 0
.LBB8_1092:
	s_and_b64 vcc, exec, s[14:15]
	s_cbranch_vccz .LBB8_1095
; %bb.1093:
	s_cmp_eq_u32 s22, 44
	s_cbranch_scc0 .LBB8_1096
; %bb.1094:
	global_load_ubyte v4, v[0:1], off
	s_movk_i32 s14, 0xff
	v_bfrev_b32_e32 v5, 4
	v_mov_b32_e32 v6, 0x7ff80000
	v_bfrev_b32_e32 v7, 28
	s_mov_b64 s[0:1], 0
	s_mov_b64 s[16:17], -1
	s_waitcnt vmcnt(0)
	v_lshlrev_b32_e32 v2, 23, v4
	v_cvt_f64_f32_e32 v[2:3], v2
	v_cmp_ne_u32_e32 vcc, s14, v4
	v_cndmask_b32_e32 v2, v5, v2, vcc
	v_cndmask_b32_e32 v3, v6, v3, vcc
	v_cmp_ne_u32_e32 vcc, 0, v4
	v_cndmask_b32_e32 v3, v7, v3, vcc
	v_cndmask_b32_e32 v2, 0, v2, vcc
.LBB8_1095:
	s_branch .LBB8_1100
.LBB8_1096:
	s_mov_b64 s[0:1], -1
                                        ; implicit-def: $vgpr2_vgpr3
	s_branch .LBB8_1100
.LBB8_1097:
	s_cmp_eq_u32 s22, 29
	s_cbranch_scc0 .LBB8_1099
; %bb.1098:
	global_load_dwordx2 v[2:3], v[0:1], off
	s_mov_b64 s[0:1], 0
	s_mov_b64 s[16:17], -1
	s_mov_b64 s[14:15], 0
	s_waitcnt vmcnt(0)
	v_cvt_f64_u32_e32 v[3:4], v3
	v_cvt_f64_u32_e32 v[5:6], v2
	v_ldexp_f64 v[3:4], v[3:4], 32
	v_add_f64 v[2:3], v[3:4], v[5:6]
	s_branch .LBB8_1101
.LBB8_1099:
	s_mov_b64 s[0:1], -1
                                        ; implicit-def: $vgpr2_vgpr3
.LBB8_1100:
	s_mov_b64 s[14:15], 0
.LBB8_1101:
	s_and_b64 vcc, exec, s[14:15]
	s_cbranch_vccz .LBB8_1121
; %bb.1102:
	s_cmp_lt_i32 s22, 27
	s_cbranch_scc1 .LBB8_1105
; %bb.1103:
	s_cmp_gt_i32 s22, 27
	s_cbranch_scc0 .LBB8_1106
; %bb.1104:
	global_load_dword v2, v[0:1], off
	s_mov_b64 s[14:15], 0
	s_waitcnt vmcnt(0)
	v_cvt_f64_u32_e32 v[2:3], v2
	s_branch .LBB8_1107
.LBB8_1105:
	s_mov_b64 s[14:15], -1
                                        ; implicit-def: $vgpr2_vgpr3
	s_branch .LBB8_1110
.LBB8_1106:
	s_mov_b64 s[14:15], -1
                                        ; implicit-def: $vgpr2_vgpr3
.LBB8_1107:
	s_andn2_b64 vcc, exec, s[14:15]
	s_cbranch_vccnz .LBB8_1109
; %bb.1108:
	global_load_ushort v2, v[0:1], off
	s_waitcnt vmcnt(0)
	v_cvt_f64_u32_e32 v[2:3], v2
.LBB8_1109:
	s_mov_b64 s[14:15], 0
.LBB8_1110:
	s_andn2_b64 vcc, exec, s[14:15]
	s_cbranch_vccnz .LBB8_1120
; %bb.1111:
	global_load_ubyte v4, v[0:1], off
	s_movk_i32 s14, 0x7f
	s_waitcnt vmcnt(0)
	v_cmp_lt_i16_e32 vcc, s14, v4
	s_mov_b64 s[14:15], 0
	s_and_saveexec_b64 s[16:17], vcc
	s_xor_b64 s[16:17], exec, s[16:17]
	s_cbranch_execz .LBB8_1115
; %bb.1112:
	s_movk_i32 s14, 0x80
	v_cmp_eq_u16_e32 vcc, s14, v4
	s_mov_b64 s[14:15], -1
	s_and_saveexec_b64 s[18:19], vcc
; %bb.1113:
	s_xor_b64 s[14:15], exec, -1
; %bb.1114:
	s_or_b64 exec, exec, s[18:19]
	s_and_b64 s[14:15], s[14:15], exec
.LBB8_1115:
	s_or_saveexec_b64 s[16:17], s[16:17]
	v_bfrev_b32_e32 v2, 4
	v_mov_b32_e32 v3, 0x7ff80000
	s_xor_b64 exec, exec, s[16:17]
; %bb.1116:
	v_cmp_ne_u16_e32 vcc, 0, v4
	v_mov_b32_e32 v2, 0
	s_andn2_b64 s[14:15], s[14:15], exec
	s_and_b64 s[18:19], vcc, exec
	v_mov_b32_e32 v3, 0
	s_or_b64 s[14:15], s[14:15], s[18:19]
; %bb.1117:
	s_or_b64 exec, exec, s[16:17]
	s_and_saveexec_b64 s[16:17], s[14:15]
	s_cbranch_execz .LBB8_1119
; %bb.1118:
	v_and_b32_e32 v3, 0xffff, v4
	v_lshlrev_b32_e32 v2, 24, v4
	v_and_b32_e32 v4, 7, v3
	v_ffbh_u32_e32 v6, v4
	v_min_u32_e32 v6, 32, v6
	v_subrev_u32_e32 v7, 28, v6
	v_bfe_u32 v5, v3, 3, 4
	v_lshlrev_b32_e32 v3, v7, v3
	v_sub_u32_e32 v6, 29, v6
	v_and_b32_e32 v3, 7, v3
	v_cmp_eq_u32_e32 vcc, 0, v5
	v_cndmask_b32_e32 v5, v5, v6, vcc
	v_cndmask_b32_e32 v3, v4, v3, vcc
	v_mov_b32_e32 v4, 0x3b800000
	v_lshlrev_b32_e32 v3, 20, v3
	v_and_b32_e32 v2, 0x80000000, v2
	v_lshl_add_u32 v4, v5, 23, v4
	v_or3_b32 v2, v2, v4, v3
	v_cvt_f64_f32_e32 v[2:3], v2
.LBB8_1119:
	s_or_b64 exec, exec, s[16:17]
.LBB8_1120:
	s_mov_b64 s[16:17], -1
.LBB8_1121:
	s_branch .LBB8_1151
.LBB8_1122:
	s_cmp_gt_i32 s22, 22
	s_cbranch_scc0 .LBB8_1134
; %bb.1123:
	s_cmp_lt_i32 s22, 24
	s_cbranch_scc1 .LBB8_1135
; %bb.1124:
	s_cmp_gt_i32 s22, 24
	s_cbranch_scc0 .LBB8_1136
; %bb.1125:
	global_load_ubyte v4, v[0:1], off
	s_movk_i32 s12, 0x7f
	s_waitcnt vmcnt(0)
	v_cmp_lt_i16_e32 vcc, s12, v4
	s_mov_b64 s[12:13], 0
	s_and_saveexec_b64 s[14:15], vcc
	s_xor_b64 s[14:15], exec, s[14:15]
	s_cbranch_execz .LBB8_1129
; %bb.1126:
	s_movk_i32 s12, 0x80
	v_cmp_eq_u16_e32 vcc, s12, v4
	s_mov_b64 s[12:13], -1
	s_and_saveexec_b64 s[16:17], vcc
; %bb.1127:
	s_xor_b64 s[12:13], exec, -1
; %bb.1128:
	s_or_b64 exec, exec, s[16:17]
	s_and_b64 s[12:13], s[12:13], exec
.LBB8_1129:
	s_or_saveexec_b64 s[14:15], s[14:15]
	v_bfrev_b32_e32 v2, 4
	v_mov_b32_e32 v3, 0x7ff80000
	s_xor_b64 exec, exec, s[14:15]
; %bb.1130:
	v_cmp_ne_u16_e32 vcc, 0, v4
	v_mov_b32_e32 v2, 0
	s_andn2_b64 s[12:13], s[12:13], exec
	s_and_b64 s[16:17], vcc, exec
	v_mov_b32_e32 v3, 0
	s_or_b64 s[12:13], s[12:13], s[16:17]
; %bb.1131:
	s_or_b64 exec, exec, s[14:15]
	s_and_saveexec_b64 s[14:15], s[12:13]
	s_cbranch_execz .LBB8_1133
; %bb.1132:
	v_and_b32_e32 v3, 0xffff, v4
	v_lshlrev_b32_e32 v2, 24, v4
	v_and_b32_e32 v4, 3, v3
	v_ffbh_u32_e32 v6, v4
	v_min_u32_e32 v6, 32, v6
	v_subrev_u32_e32 v7, 29, v6
	v_bfe_u32 v5, v3, 2, 5
	v_lshlrev_b32_e32 v3, v7, v3
	v_sub_u32_e32 v6, 30, v6
	v_and_b32_e32 v3, 3, v3
	v_cmp_eq_u32_e32 vcc, 0, v5
	v_cndmask_b32_e32 v5, v5, v6, vcc
	v_cndmask_b32_e32 v3, v4, v3, vcc
	v_mov_b32_e32 v4, 0x37800000
	v_lshlrev_b32_e32 v3, 21, v3
	v_and_b32_e32 v2, 0x80000000, v2
	v_lshl_add_u32 v4, v5, 23, v4
	v_or3_b32 v2, v2, v4, v3
	v_cvt_f64_f32_e32 v[2:3], v2
.LBB8_1133:
	s_or_b64 exec, exec, s[14:15]
	s_mov_b64 s[12:13], 0
	s_branch .LBB8_1137
.LBB8_1134:
                                        ; implicit-def: $vgpr2_vgpr3
	s_mov_b64 s[12:13], 0
	s_branch .LBB8_1143
.LBB8_1135:
	s_mov_b64 s[12:13], -1
                                        ; implicit-def: $vgpr2_vgpr3
	s_branch .LBB8_1140
.LBB8_1136:
	s_mov_b64 s[12:13], -1
                                        ; implicit-def: $vgpr2_vgpr3
.LBB8_1137:
	s_and_b64 vcc, exec, s[12:13]
	s_cbranch_vccz .LBB8_1139
; %bb.1138:
	global_load_ubyte v2, v[0:1], off
	s_mov_b32 s12, 0x7f800000
	s_waitcnt vmcnt(0)
	v_lshlrev_b32_e32 v2, 24, v2
	v_and_b32_e32 v3, 0x7f000000, v2
	v_ffbh_u32_e32 v4, v3
	v_min_u32_e32 v4, 32, v4
	v_sub_u32_e64 v4, v4, 4 clamp
	v_lshlrev_b32_e32 v6, v4, v3
	v_lshlrev_b32_e32 v4, 23, v4
	v_lshrrev_b32_e32 v6, 4, v6
	v_add_u32_e32 v5, 0x1000000, v3
	v_sub_u32_e32 v4, v6, v4
	v_ashrrev_i32_e32 v5, 8, v5
	v_add_u32_e32 v4, 0x3c000000, v4
	v_and_or_b32 v4, v5, s12, v4
	v_cmp_ne_u32_e32 vcc, 0, v3
	v_cndmask_b32_e32 v3, 0, v4, vcc
	s_brev_b32 s12, 1
	v_and_or_b32 v2, v2, s12, v3
	v_cvt_f64_f32_e32 v[2:3], v2
.LBB8_1139:
	s_mov_b64 s[12:13], 0
.LBB8_1140:
	s_andn2_b64 vcc, exec, s[12:13]
	s_cbranch_vccnz .LBB8_1142
; %bb.1141:
	global_load_ubyte v2, v[0:1], off
	s_movk_i32 s12, 0x7f00
	s_brev_b32 s13, 16
	s_waitcnt vmcnt(0)
	v_lshlrev_b16_e32 v3, 8, v2
	v_lshlrev_b32_e32 v2, 25, v2
	v_lshrrev_b32_e32 v4, 4, v2
	v_and_or_b32 v5, v3, s12, 0.5
	v_or_b32_e32 v4, 0x70000000, v4
	v_add_f32_e32 v5, -0.5, v5
	v_mul_f32_e32 v4, 0x7800000, v4
	v_cmp_gt_u32_e32 vcc, s13, v2
	v_bfe_i32 v3, v3, 0, 16
	v_cndmask_b32_e32 v2, v4, v5, vcc
	s_brev_b32 s12, 1
	v_and_or_b32 v2, v3, s12, v2
	v_cvt_f64_f32_e32 v[2:3], v2
.LBB8_1142:
	s_mov_b64 s[16:17], -1
	s_mov_b64 s[12:13], 0
	s_cbranch_execnz .LBB8_1151
.LBB8_1143:
	s_cmp_gt_i32 s22, 14
	s_cbranch_scc0 .LBB8_1146
; %bb.1144:
	s_cmp_eq_u32 s22, 15
	s_cbranch_scc0 .LBB8_1147
; %bb.1145:
	global_load_ushort v2, v[0:1], off
	s_mov_b64 s[0:1], 0
	s_mov_b64 s[16:17], -1
	s_waitcnt vmcnt(0)
	v_lshlrev_b32_e32 v2, 16, v2
	v_cvt_f64_f32_e32 v[2:3], v2
	s_branch .LBB8_1148
.LBB8_1146:
	s_mov_b64 s[14:15], -1
                                        ; implicit-def: $vgpr2_vgpr3
	s_branch .LBB8_1149
.LBB8_1147:
	s_mov_b64 s[0:1], -1
                                        ; implicit-def: $vgpr2_vgpr3
.LBB8_1148:
	s_mov_b64 s[14:15], 0
.LBB8_1149:
	s_and_b64 vcc, exec, s[14:15]
	s_cbranch_vccz .LBB8_1151
; %bb.1150:
	s_cmp_lg_u32 s22, 11
	s_mov_b64 s[12:13], -1
	s_cselect_b64 s[0:1], -1, 0
.LBB8_1151:
	s_and_b64 vcc, exec, s[0:1]
	s_mov_b64 s[14:15], s[6:7]
	s_cbranch_vccnz .LBB8_1224
; %bb.1152:
	s_andn2_b64 vcc, exec, s[12:13]
	s_cbranch_vccnz .LBB8_1154
.LBB8_1153:
	global_load_ubyte v3, v[0:1], off
	v_mov_b32_e32 v4, 0x3ff00000
	v_mov_b32_e32 v2, 0
	s_mov_b64 s[16:17], -1
	s_waitcnt vmcnt(0)
	v_cmp_ne_u16_e32 vcc, 0, v3
	v_cndmask_b32_e32 v3, 0, v4, vcc
.LBB8_1154:
	s_branch .LBB8_1084
.LBB8_1155:
	s_cmp_lt_i32 s22, 5
	s_cbranch_scc1 .LBB8_1160
; %bb.1156:
	s_cmp_lt_i32 s22, 8
	s_cbranch_scc1 .LBB8_1161
; %bb.1157:
	;; [unrolled: 3-line block ×3, first 2 shown]
	s_cmp_gt_i32 s22, 9
	s_cbranch_scc0 .LBB8_1163
; %bb.1159:
	global_load_dwordx2 v[2:3], v[0:1], off
	s_mov_b64 s[0:1], 0
	s_branch .LBB8_1164
.LBB8_1160:
                                        ; implicit-def: $vgpr2_vgpr3
	s_branch .LBB8_1181
.LBB8_1161:
                                        ; implicit-def: $vgpr2_vgpr3
	s_branch .LBB8_1170
.LBB8_1162:
	s_mov_b64 s[0:1], -1
                                        ; implicit-def: $vgpr2_vgpr3
	s_branch .LBB8_1167
.LBB8_1163:
	s_mov_b64 s[0:1], -1
                                        ; implicit-def: $vgpr2_vgpr3
.LBB8_1164:
	s_andn2_b64 vcc, exec, s[0:1]
	s_cbranch_vccnz .LBB8_1166
; %bb.1165:
	global_load_dword v2, v[0:1], off
	s_waitcnt vmcnt(0)
	v_cvt_f64_f32_e32 v[2:3], v2
.LBB8_1166:
	s_mov_b64 s[0:1], 0
.LBB8_1167:
	s_andn2_b64 vcc, exec, s[0:1]
	s_cbranch_vccnz .LBB8_1169
; %bb.1168:
	global_load_dword v2, v[0:1], off
	s_waitcnt vmcnt(0)
	v_cvt_f32_f16_e32 v2, v2
	v_cvt_f64_f32_e32 v[2:3], v2
.LBB8_1169:
	s_cbranch_execnz .LBB8_1180
.LBB8_1170:
	s_cmp_lt_i32 s22, 6
	s_cbranch_scc1 .LBB8_1173
; %bb.1171:
	s_cmp_gt_i32 s22, 6
	s_cbranch_scc0 .LBB8_1174
; %bb.1172:
	global_load_dwordx2 v[2:3], v[0:1], off
	s_mov_b64 s[0:1], 0
	s_branch .LBB8_1175
.LBB8_1173:
	s_mov_b64 s[0:1], -1
                                        ; implicit-def: $vgpr2_vgpr3
	s_branch .LBB8_1178
.LBB8_1174:
	s_mov_b64 s[0:1], -1
                                        ; implicit-def: $vgpr2_vgpr3
.LBB8_1175:
	s_andn2_b64 vcc, exec, s[0:1]
	s_cbranch_vccnz .LBB8_1177
; %bb.1176:
	global_load_dword v2, v[0:1], off
	s_waitcnt vmcnt(0)
	v_cvt_f64_f32_e32 v[2:3], v2
.LBB8_1177:
	s_mov_b64 s[0:1], 0
.LBB8_1178:
	s_andn2_b64 vcc, exec, s[0:1]
	s_cbranch_vccnz .LBB8_1180
; %bb.1179:
	global_load_ushort v2, v[0:1], off
	s_waitcnt vmcnt(0)
	v_cvt_f32_f16_e32 v2, v2
	v_cvt_f64_f32_e32 v[2:3], v2
.LBB8_1180:
	s_cbranch_execnz .LBB8_1199
.LBB8_1181:
	s_cmp_lt_i32 s22, 2
	s_cbranch_scc1 .LBB8_1185
; %bb.1182:
	s_cmp_lt_i32 s22, 3
	s_cbranch_scc1 .LBB8_1186
; %bb.1183:
	s_cmp_gt_i32 s22, 3
	s_cbranch_scc0 .LBB8_1187
; %bb.1184:
	global_load_dwordx2 v[2:3], v[0:1], off
	s_mov_b64 s[0:1], 0
	s_waitcnt vmcnt(0)
	v_cvt_f64_i32_e32 v[3:4], v3
	v_cvt_f64_u32_e32 v[5:6], v2
	v_ldexp_f64 v[3:4], v[3:4], 32
	v_add_f64 v[2:3], v[3:4], v[5:6]
	s_branch .LBB8_1188
.LBB8_1185:
                                        ; implicit-def: $vgpr2_vgpr3
	s_branch .LBB8_1194
.LBB8_1186:
	s_mov_b64 s[0:1], -1
                                        ; implicit-def: $vgpr2_vgpr3
	s_branch .LBB8_1191
.LBB8_1187:
	s_mov_b64 s[0:1], -1
                                        ; implicit-def: $vgpr2_vgpr3
.LBB8_1188:
	s_andn2_b64 vcc, exec, s[0:1]
	s_cbranch_vccnz .LBB8_1190
; %bb.1189:
	global_load_dword v2, v[0:1], off
	s_waitcnt vmcnt(0)
	v_cvt_f64_i32_e32 v[2:3], v2
.LBB8_1190:
	s_mov_b64 s[0:1], 0
.LBB8_1191:
	s_andn2_b64 vcc, exec, s[0:1]
	s_cbranch_vccnz .LBB8_1193
; %bb.1192:
	global_load_sshort v2, v[0:1], off
	s_waitcnt vmcnt(0)
	v_cvt_f64_i32_e32 v[2:3], v2
.LBB8_1193:
	s_cbranch_execnz .LBB8_1199
.LBB8_1194:
	s_cmp_gt_i32 s22, 0
	s_cbranch_scc0 .LBB8_1196
; %bb.1195:
	global_load_sbyte v2, v[0:1], off
	s_mov_b64 s[0:1], 0
	s_waitcnt vmcnt(0)
	v_cvt_f64_i32_e32 v[2:3], v2
	s_branch .LBB8_1197
.LBB8_1196:
	s_mov_b64 s[0:1], -1
                                        ; implicit-def: $vgpr2_vgpr3
.LBB8_1197:
	s_andn2_b64 vcc, exec, s[0:1]
	s_cbranch_vccnz .LBB8_1199
; %bb.1198:
	global_load_ubyte v0, v[0:1], off
	s_waitcnt vmcnt(0)
	v_cvt_f64_u32_e32 v[2:3], v0
.LBB8_1199:
.LBB8_1200:
	s_mov_b32 s0, 0
	s_mov_b32 s1, 0x40200000
	s_waitcnt vmcnt(0)
	v_cmp_le_f64_e64 s[0:1], |v[2:3]|, s[0:1]
                                        ; implicit-def: $vgpr0_vgpr1
	s_and_saveexec_b64 s[12:13], s[0:1]
	s_xor_b64 s[0:1], exec, s[12:13]
	s_cbranch_execz .LBB8_1206
; %bb.1201:
	v_fma_f64 v[0:1], |v[2:3]|, 0.5, -2.0
	v_mov_b32_e32 v4, 0xc38a0576
	v_mov_b32_e32 v5, 0xbc7857d0
	s_mov_b32 s13, 0x3c499f2a
	s_mov_b32 s12, 0xc3c4014
	;; [unrolled: 1-line block ×4, first 2 shown]
	v_mov_b32_e32 v15, 0xfca7ab0c
	v_fma_f64 v[4:5], v[0:1], s[12:13], v[4:5]
	s_mov_b32 s13, 0xbc499f2a
	v_mov_b32_e32 v16, 0x3e928af3
	v_cmp_ngt_f64_e32 vcc, 0, v[2:3]
	v_fma_f64 v[6:7], v[0:1], v[4:5], s[12:13]
	s_mov_b32 s12, 0xe593bfac
	s_mov_b32 s13, 0x3ca663e3
	v_add_f64 v[6:7], v[6:7], s[12:13]
	s_mov_b32 s12, 0x7e0d1573
	s_mov_b32 s13, 0xbcd3eaaa
	v_fma_f64 v[4:5], v[0:1], v[6:7], -v[4:5]
	v_add_f64 v[4:5], v[4:5], s[12:13]
	s_mov_b32 s12, 0x615290c
	s_mov_b32 s13, 0x3d011d7f
	v_fma_f64 v[6:7], v[0:1], v[4:5], -v[6:7]
	;; [unrolled: 4-line block ×20, first 2 shown]
	v_add_f64 v[6:7], v[6:7], s[12:13]
	s_mov_b32 s12, 0x652b82fe
	s_mov_b32 s13, 0x3ff71547
	v_mul_f64 v[9:10], |v[2:3]|, s[12:13]
	s_mov_b32 s12, 0x7913a26a
	s_mov_b32 s13, 0xbf85a29f
	v_fma_f64 v[4:5], v[0:1], v[6:7], -v[4:5]
	v_rndne_f64_e32 v[9:10], v[9:10]
	v_add_f64 v[4:5], v[4:5], s[12:13]
	s_mov_b32 s12, 0xfefa39ef
	s_mov_b32 s13, 0xbfe62e42
	v_fma_f64 v[11:12], v[9:10], s[12:13], |v[2:3]|
	s_mov_b32 s12, 0xe7bb2349
	s_mov_b32 s13, 0x3f9951e3
	v_fma_f64 v[6:7], v[0:1], v[4:5], -v[6:7]
	v_fma_f64 v[11:12], v[9:10], s[16:17], v[11:12]
	s_mov_b32 s16, 0x623fde64
	s_mov_b32 s17, 0x3ec71dee
	v_cvt_i32_f64_e32 v9, v[9:10]
	v_add_f64 v[6:7], v[6:7], s[12:13]
	s_mov_b32 s12, 0x6a5dcb37
	s_mov_b32 s13, 0x3e5ade15
	v_fma_f64 v[15:16], v[11:12], s[12:13], v[15:16]
	s_mov_b32 s12, 0x537c9ebc
	s_mov_b32 s13, 0xbfab1bbc
	v_fma_f64 v[4:5], v[0:1], v[6:7], -v[4:5]
	v_fma_f64 v[15:16], v[11:12], v[15:16], s[16:17]
	s_mov_b32 s16, 0x14761f6e
	s_mov_b32 s17, 0x3f2a01a0
	v_add_f64 v[4:5], v[4:5], s[12:13]
	s_mov_b32 s12, 0x7c89e6b0
	s_mov_b32 s13, 0x3efa0199
	v_fma_f64 v[15:16], v[11:12], v[15:16], s[12:13]
	s_mov_b32 s12, 0xd536f53c
	s_mov_b32 s13, 0x3fba46da
	v_fma_f64 v[6:7], v[0:1], v[4:5], -v[6:7]
	v_fma_f64 v[15:16], v[11:12], v[15:16], s[16:17]
	s_mov_b32 s16, 0x11122322
	s_mov_b32 s17, 0x3f811111
	;; [unrolled: 10-line block ×3, first 2 shown]
	v_add_f64 v[4:5], v[4:5], s[12:13]
	s_mov_b32 s12, 0x555502a1
	s_mov_b32 s13, 0x3fa55555
	v_fma_f64 v[0:1], v[0:1], v[4:5], -v[6:7]
	v_fma_f64 v[4:5], v[11:12], v[15:16], s[12:13]
	s_mov_b32 s12, 0x724a7ffa
	s_mov_b32 s13, 0x3fd02a63
	v_add_f64 v[0:1], v[0:1], s[12:13]
	v_fma_f64 v[4:5], v[11:12], v[4:5], s[16:17]
	s_mov_b32 s12, 11
	s_mov_b32 s13, 0x3fe00000
	v_add_f64 v[0:1], v[0:1], -v[6:7]
	v_fma_f64 v[4:5], v[11:12], v[4:5], s[12:13]
	v_mul_f64 v[0:1], v[0:1], 0.5
	v_fma_f64 v[6:7], v[11:12], v[4:5], 1.0
	v_mul_f64 v[4:5], |v[2:3]|, v[0:1]
	v_fma_f64 v[6:7], v[11:12], v[6:7], 1.0
                                        ; implicit-def: $vgpr0_vgpr1
	s_and_saveexec_b64 s[12:13], vcc
	s_xor_b64 s[12:13], exec, s[12:13]
	s_cbranch_execz .LBB8_1203
; %bb.1202:
	s_mov_b32 s16, 0
	s_mov_b32 s17, 0x40900000
	v_ldexp_f64 v[0:1], v[6:7], v9
	v_cmp_ngt_f64_e64 vcc, |v[2:3]|, s[16:17]
	v_mov_b32_e32 v6, 0x7ff00000
                                        ; implicit-def: $vgpr9
                                        ; implicit-def: $vgpr2_vgpr3
	v_cndmask_b32_e32 v1, v6, v1, vcc
	v_cndmask_b32_e32 v0, 0, v0, vcc
	v_mul_f64 v[0:1], v[0:1], v[4:5]
                                        ; implicit-def: $vgpr6_vgpr7
                                        ; implicit-def: $vgpr4_vgpr5
.LBB8_1203:
	s_andn2_saveexec_b64 s[12:13], s[12:13]
	s_cbranch_execz .LBB8_1205
; %bb.1204:
	s_mov_b32 s16, 0
	s_mov_b32 s17, 0x40900000
	v_ldexp_f64 v[0:1], -v[6:7], v9
	v_cmp_ngt_f64_e64 vcc, |v[2:3]|, s[16:17]
	v_mov_b32_e32 v6, 0xfff00000
	v_cndmask_b32_e32 v1, v6, v1, vcc
	v_cndmask_b32_e32 v0, 0, v0, vcc
	v_mul_f64 v[0:1], v[0:1], v[4:5]
.LBB8_1205:
	s_or_b64 exec, exec, s[12:13]
                                        ; implicit-def: $vgpr2_vgpr3
.LBB8_1206:
	s_andn2_saveexec_b64 s[12:13], s[0:1]
	s_cbranch_execz .LBB8_1212
; %bb.1207:
	s_mov_b32 s0, 0
	v_and_b32_e32 v1, 0x7fffffff, v3
	v_mov_b32_e32 v0, v2
	s_mov_b32 s1, 0x40400000
	v_div_scale_f64 v[4:5], s[16:17], v[0:1], v[0:1], s[0:1]
	v_div_scale_f64 v[0:1], vcc, s[0:1], v[0:1], s[0:1]
	v_mov_b32_e32 v15, 0xfca7ab0c
	v_mov_b32_e32 v16, 0x3e928af3
	v_rcp_f64_e32 v[6:7], v[4:5]
	v_fma_f64 v[9:10], -v[4:5], v[6:7], 1.0
	v_fma_f64 v[6:7], v[6:7], v[9:10], v[6:7]
	v_fma_f64 v[9:10], -v[4:5], v[6:7], 1.0
	v_fma_f64 v[6:7], v[6:7], v[9:10], v[6:7]
	v_mul_f64 v[9:10], v[0:1], v[6:7]
	v_fma_f64 v[0:1], -v[4:5], v[9:10], v[0:1]
	v_mov_b32_e32 v4, 0xea87b950
	v_mov_b32_e32 v5, 0x3c545b8a
	v_div_fmas_f64 v[0:1], v[0:1], v[6:7], v[9:10]
	v_cmp_ngt_f64_e32 vcc, 0, v[2:3]
	v_div_fixup_f64 v[0:1], v[0:1], |v[2:3]|, s[0:1]
	s_mov_b32 s1, 0x3c61556d
	s_mov_b32 s0, 0xb352e8e6
	v_add_f64 v[0:1], v[0:1], -2.0
	v_fma_f64 v[4:5], v[0:1], s[0:1], v[4:5]
	s_mov_b32 s1, 0xbc61556d
	v_fma_f64 v[6:7], v[0:1], v[4:5], s[0:1]
	s_mov_b32 s0, 0xb2532277
	s_mov_b32 s1, 0xbc8acea3
	v_add_f64 v[6:7], v[6:7], s[0:1]
	s_mov_b32 s0, 0x9c773320
	s_mov_b32 s1, 0xbc82806c
	v_fma_f64 v[4:5], v[0:1], v[6:7], -v[4:5]
	v_add_f64 v[4:5], v[4:5], s[0:1]
	s_mov_b32 s0, 0xfceb588a
	s_mov_b32 s1, 0x3cb55915
	v_fma_f64 v[6:7], v[0:1], v[4:5], -v[6:7]
	;; [unrolled: 4-line block ×14, first 2 shown]
	v_add_f64 v[6:7], v[6:7], s[0:1]
	s_mov_b32 s0, 0x652b82fe
	s_mov_b32 s1, 0x3ff71547
	v_mul_f64 v[9:10], |v[2:3]|, s[0:1]
	s_mov_b32 s0, 0x5423dd80
	s_mov_b32 s1, 0xbe0334ca
	v_fma_f64 v[4:5], v[0:1], v[6:7], -v[4:5]
	v_rndne_f64_e32 v[9:10], v[9:10]
	v_add_f64 v[4:5], v[4:5], s[0:1]
	s_mov_b32 s0, 0xfefa39ef
	s_mov_b32 s1, 0xbfe62e42
	v_fma_f64 v[11:12], v[9:10], s[0:1], |v[2:3]|
	s_mov_b32 s0, 0x9ad53528
	s_mov_b32 s1, 0xbe30790b
	v_fma_f64 v[6:7], v[0:1], v[4:5], -v[6:7]
	v_add_f64 v[6:7], v[6:7], s[0:1]
	s_mov_b32 s0, 0x3b39803f
	s_mov_b32 s1, 0xbc7abc9e
	v_fma_f64 v[11:12], v[9:10], s[0:1], v[11:12]
	s_mov_b32 s0, 0x6a5dcb37
	s_mov_b32 s1, 0x3e5ade15
	v_cvt_i32_f64_e32 v9, v[9:10]
	v_fma_f64 v[4:5], v[0:1], v[6:7], -v[4:5]
	v_fma_f64 v[15:16], v[11:12], s[0:1], v[15:16]
	s_mov_b32 s0, 0x94bb46c1
	s_mov_b32 s1, 0xbe5c4153
	v_add_f64 v[4:5], v[4:5], s[0:1]
	s_mov_b32 s0, 0x623fde64
	s_mov_b32 s1, 0x3ec71dee
	v_fma_f64 v[15:16], v[11:12], v[15:16], s[0:1]
	s_mov_b32 s0, 0x7c89e6b0
	s_mov_b32 s1, 0x3efa0199
	v_fma_f64 v[6:7], v[0:1], v[4:5], -v[6:7]
	v_fma_f64 v[15:16], v[11:12], v[15:16], s[0:1]
	s_mov_b32 s0, 0x2e9e5443
	s_mov_b32 s1, 0xbe90dbfd
	v_add_f64 v[6:7], v[6:7], s[0:1]
	s_mov_b32 s0, 0x14761f6e
	s_mov_b32 s1, 0x3f2a01a0
	v_fma_f64 v[15:16], v[11:12], v[15:16], s[0:1]
	s_mov_b32 s0, 0x1852b7b0
	s_mov_b32 s1, 0x3f56c16c
	;; [unrolled: 10-line block ×4, first 2 shown]
	v_fma_f64 v[4:5], v[0:1], v[6:7], -v[4:5]
	v_fma_f64 v[15:16], v[11:12], v[15:16], s[0:1]
	s_mov_b32 s0, 0x53fcdb4c
	s_mov_b32 s1, 0xbf83fda0
	v_add_f64 v[4:5], v[4:5], s[0:1]
	s_mov_b32 s0, 0xb55b1514
	s_mov_b32 s1, 0x3fe8ea18
	v_fma_f64 v[15:16], v[11:12], v[15:16], 1.0
	v_fma_f64 v[0:1], v[0:1], v[4:5], -v[6:7]
	v_fma_f64 v[4:5], v[11:12], v[15:16], 1.0
	v_add_f64 v[0:1], v[0:1], s[0:1]
	s_mov_b32 s0, 0
	s_mov_b32 s1, 0x40900000
	v_ldexp_f64 v[4:5], v[4:5], v9
	v_cmp_ngt_f64_e64 s[0:1], |v[2:3]|, s[0:1]
	v_mov_b32_e32 v9, 0x7ff00000
	v_add_f64 v[6:7], v[0:1], -v[6:7]
                                        ; implicit-def: $vgpr0_vgpr1
	v_cndmask_b32_e64 v5, v9, v5, s[0:1]
	v_cndmask_b32_e64 v4, 0, v4, s[0:1]
	s_and_saveexec_b64 s[0:1], vcc
	s_xor_b64 s[0:1], exec, s[0:1]
	s_cbranch_execz .LBB8_1209
; %bb.1208:
	s_mov_b32 s16, 0
	s_brev_b32 s17, 8
	v_cmp_lt_f64_e64 vcc, |v[2:3]|, s[16:17]
	v_mov_b32_e32 v0, 0x100
	v_mul_f64 v[6:7], v[6:7], 0.5
	v_cndmask_b32_e32 v0, 0, v0, vcc
	v_ldexp_f64 v[0:1], |v[2:3]|, v0
	v_mul_f64 v[4:5], v[4:5], v[6:7]
	v_rsq_f64_e32 v[2:3], v[0:1]
	v_mul_f64 v[9:10], v[0:1], v[2:3]
	v_mul_f64 v[2:3], v[2:3], 0.5
	v_fma_f64 v[11:12], -v[2:3], v[9:10], 0.5
	v_fma_f64 v[9:10], v[9:10], v[11:12], v[9:10]
	v_fma_f64 v[2:3], v[2:3], v[11:12], v[2:3]
	v_fma_f64 v[11:12], -v[9:10], v[9:10], v[0:1]
	v_fma_f64 v[9:10], v[11:12], v[2:3], v[9:10]
	v_fma_f64 v[11:12], -v[9:10], v[9:10], v[0:1]
	v_fma_f64 v[2:3], v[11:12], v[2:3], v[9:10]
	v_mov_b32_e32 v9, 0xffffff80
	v_mov_b32_e32 v10, 0x260
	v_cndmask_b32_e32 v9, 0, v9, vcc
	v_cmp_class_f64_e32 vcc, v[0:1], v10
	v_ldexp_f64 v[2:3], v[2:3], v9
	v_cndmask_b32_e32 v1, v3, v1, vcc
	v_cndmask_b32_e32 v0, v2, v0, vcc
	v_div_scale_f64 v[2:3], s[16:17], v[0:1], v[0:1], v[4:5]
	v_div_scale_f64 v[11:12], vcc, v[4:5], v[0:1], v[4:5]
	v_rcp_f64_e32 v[6:7], v[2:3]
	v_fma_f64 v[9:10], -v[2:3], v[6:7], 1.0
	v_fma_f64 v[6:7], v[6:7], v[9:10], v[6:7]
	v_fma_f64 v[9:10], -v[2:3], v[6:7], 1.0
	v_fma_f64 v[6:7], v[6:7], v[9:10], v[6:7]
	v_mul_f64 v[9:10], v[11:12], v[6:7]
	v_fma_f64 v[2:3], -v[2:3], v[9:10], v[11:12]
	v_div_fmas_f64 v[2:3], v[2:3], v[6:7], v[9:10]
                                        ; implicit-def: $vgpr6_vgpr7
	v_div_fixup_f64 v[0:1], v[2:3], v[0:1], v[4:5]
                                        ; implicit-def: $vgpr2_vgpr3
                                        ; implicit-def: $vgpr4_vgpr5
.LBB8_1209:
	s_andn2_saveexec_b64 s[0:1], s[0:1]
	s_cbranch_execz .LBB8_1211
; %bb.1210:
	s_mov_b32 s16, 0
	s_brev_b32 s17, 8
	v_cmp_lt_f64_e64 vcc, |v[2:3]|, s[16:17]
	v_mov_b32_e32 v0, 0x100
	v_mul_f64 v[6:7], v[6:7], -0.5
	v_cndmask_b32_e32 v0, 0, v0, vcc
	v_ldexp_f64 v[0:1], |v[2:3]|, v0
	v_mul_f64 v[4:5], v[4:5], v[6:7]
	v_rsq_f64_e32 v[2:3], v[0:1]
	v_mul_f64 v[9:10], v[0:1], v[2:3]
	v_mul_f64 v[2:3], v[2:3], 0.5
	v_fma_f64 v[11:12], -v[2:3], v[9:10], 0.5
	v_fma_f64 v[9:10], v[9:10], v[11:12], v[9:10]
	v_fma_f64 v[2:3], v[2:3], v[11:12], v[2:3]
	v_fma_f64 v[11:12], -v[9:10], v[9:10], v[0:1]
	v_fma_f64 v[9:10], v[11:12], v[2:3], v[9:10]
	v_fma_f64 v[11:12], -v[9:10], v[9:10], v[0:1]
	v_fma_f64 v[2:3], v[11:12], v[2:3], v[9:10]
	v_mov_b32_e32 v9, 0xffffff80
	v_mov_b32_e32 v10, 0x260
	v_cndmask_b32_e32 v9, 0, v9, vcc
	v_cmp_class_f64_e32 vcc, v[0:1], v10
	v_ldexp_f64 v[2:3], v[2:3], v9
	v_cndmask_b32_e32 v1, v3, v1, vcc
	v_cndmask_b32_e32 v0, v2, v0, vcc
	v_div_scale_f64 v[2:3], s[16:17], v[0:1], v[0:1], v[4:5]
	v_div_scale_f64 v[11:12], vcc, v[4:5], v[0:1], v[4:5]
	v_rcp_f64_e32 v[6:7], v[2:3]
	v_fma_f64 v[9:10], -v[2:3], v[6:7], 1.0
	v_fma_f64 v[6:7], v[6:7], v[9:10], v[6:7]
	v_fma_f64 v[9:10], -v[2:3], v[6:7], 1.0
	v_fma_f64 v[6:7], v[6:7], v[9:10], v[6:7]
	v_mul_f64 v[9:10], v[11:12], v[6:7]
	v_fma_f64 v[2:3], -v[2:3], v[9:10], v[11:12]
	v_div_fmas_f64 v[2:3], v[2:3], v[6:7], v[9:10]
	v_div_fixup_f64 v[0:1], v[2:3], v[0:1], v[4:5]
.LBB8_1211:
	s_or_b64 exec, exec, s[0:1]
.LBB8_1212:
	s_or_b64 exec, exec, s[12:13]
	s_lshl_b32 s3, s3, 7
	v_add_u32_e32 v10, s3, v8
	v_ashrrev_i32_e32 v2, 31, v10
	v_mov_b32_e32 v3, s11
	v_add_co_u32_e32 v4, vcc, s10, v10
	s_cmp_lt_i32 s22, 11
	v_addc_co_u32_e32 v5, vcc, v3, v2, vcc
	s_cbranch_scc1 .LBB8_1219
; %bb.1213:
	s_cmp_gt_i32 s22, 25
	s_mov_b64 s[12:13], 0
	s_cbranch_scc0 .LBB8_1221
; %bb.1214:
	s_cmp_gt_i32 s22, 28
	s_cbranch_scc0 .LBB8_1222
; %bb.1215:
	s_cmp_gt_i32 s22, 43
	;; [unrolled: 3-line block ×3, first 2 shown]
	s_cbranch_scc0 .LBB8_1225
; %bb.1217:
	s_cmp_eq_u32 s22, 46
	s_mov_b64 s[18:19], 0
	s_cbranch_scc0 .LBB8_1228
; %bb.1218:
	global_load_dword v2, v[4:5], off
	s_mov_b64 s[0:1], 0
	s_mov_b64 s[16:17], -1
	s_waitcnt vmcnt(0)
	v_lshlrev_b32_e32 v2, 16, v2
	v_cvt_f64_f32_e32 v[2:3], v2
	s_branch .LBB8_1229
.LBB8_1219:
	s_mov_b64 s[16:17], 0
                                        ; implicit-def: $vgpr2_vgpr3
	s_cbranch_execnz .LBB8_1294
.LBB8_1220:
	s_andn2_b64 vcc, exec, s[16:17]
	s_cbranch_vccnz .LBB8_1714
	s_branch .LBB8_1341
.LBB8_1221:
	s_mov_b64 s[16:17], 0
	s_mov_b64 s[0:1], 0
                                        ; implicit-def: $vgpr2_vgpr3
	s_cbranch_execnz .LBB8_1260
	s_branch .LBB8_1290
.LBB8_1222:
	s_mov_b64 s[18:19], -1
	s_mov_b64 s[16:17], 0
	s_mov_b64 s[0:1], 0
                                        ; implicit-def: $vgpr2_vgpr3
	s_branch .LBB8_1239
.LBB8_1223:
	s_mov_b64 s[18:19], -1
	s_mov_b64 s[16:17], 0
	s_mov_b64 s[0:1], 0
                                        ; implicit-def: $vgpr2_vgpr3
	s_branch .LBB8_1234
.LBB8_1224:
	s_or_b64 s[14:15], s[6:7], exec
	s_trap 2
	s_cbranch_execz .LBB8_1153
	s_branch .LBB8_1154
.LBB8_1225:
	s_mov_b64 s[18:19], -1
	s_mov_b64 s[16:17], 0
	s_mov_b64 s[0:1], 0
                                        ; implicit-def: $vgpr2_vgpr3
	s_branch .LBB8_1229
.LBB8_1226:
	s_andn2_saveexec_b64 s[24:25], s[24:25]
	s_cbranch_execz .LBB8_1000
.LBB8_1227:
	s_mov_b32 s28, 0x42800000
	v_add_f32_e64 v3, |v2|, s28
	v_and_b32_e32 v3, 0xff, v3
	v_cmp_ne_u32_e32 vcc, 0, v3
	s_andn2_b64 s[22:23], s[22:23], exec
	s_and_b64 s[28:29], vcc, exec
	s_or_b64 s[22:23], s[22:23], s[28:29]
	s_or_b64 exec, exec, s[24:25]
	v_mov_b32_e32 v6, 0
	s_and_saveexec_b64 s[24:25], s[22:23]
	s_cbranch_execnz .LBB8_1001
	s_branch .LBB8_1002
.LBB8_1228:
	s_mov_b64 s[0:1], -1
                                        ; implicit-def: $vgpr2_vgpr3
	s_mov_b64 s[16:17], 0
.LBB8_1229:
	s_and_b64 vcc, exec, s[18:19]
	s_cbranch_vccz .LBB8_1233
; %bb.1230:
	s_cmp_eq_u32 s22, 44
	s_cbranch_scc0 .LBB8_1232
; %bb.1231:
	global_load_ubyte v6, v[4:5], off
	s_movk_i32 s16, 0xff
	v_bfrev_b32_e32 v7, 4
	v_mov_b32_e32 v8, 0x7ff80000
	v_bfrev_b32_e32 v9, 28
	s_mov_b64 s[0:1], 0
	s_waitcnt vmcnt(0)
	v_lshlrev_b32_e32 v2, 23, v6
	v_cvt_f64_f32_e32 v[2:3], v2
	v_cmp_ne_u32_e32 vcc, s16, v6
	s_mov_b64 s[16:17], -1
	v_cndmask_b32_e32 v2, v7, v2, vcc
	v_cndmask_b32_e32 v3, v8, v3, vcc
	v_cmp_ne_u32_e32 vcc, 0, v6
	v_cndmask_b32_e32 v3, v9, v3, vcc
	v_cndmask_b32_e32 v2, 0, v2, vcc
	s_branch .LBB8_1233
.LBB8_1232:
	s_mov_b64 s[0:1], -1
                                        ; implicit-def: $vgpr2_vgpr3
.LBB8_1233:
	s_mov_b64 s[18:19], 0
.LBB8_1234:
	s_and_b64 vcc, exec, s[18:19]
	s_cbranch_vccz .LBB8_1238
; %bb.1235:
	s_cmp_eq_u32 s22, 29
	s_cbranch_scc0 .LBB8_1237
; %bb.1236:
	global_load_dwordx2 v[2:3], v[4:5], off
	s_mov_b64 s[0:1], 0
	s_mov_b64 s[16:17], -1
	s_mov_b64 s[18:19], 0
	s_waitcnt vmcnt(0)
	v_cvt_f64_u32_e32 v[6:7], v3
	v_cvt_f64_u32_e32 v[2:3], v2
	v_ldexp_f64 v[6:7], v[6:7], 32
	v_add_f64 v[2:3], v[6:7], v[2:3]
	s_branch .LBB8_1239
.LBB8_1237:
	s_mov_b64 s[0:1], -1
                                        ; implicit-def: $vgpr2_vgpr3
.LBB8_1238:
	s_mov_b64 s[18:19], 0
.LBB8_1239:
	s_and_b64 vcc, exec, s[18:19]
	s_cbranch_vccz .LBB8_1259
; %bb.1240:
	s_cmp_lt_i32 s22, 27
	s_cbranch_scc1 .LBB8_1243
; %bb.1241:
	s_cmp_gt_i32 s22, 27
	s_cbranch_scc0 .LBB8_1244
; %bb.1242:
	global_load_dword v2, v[4:5], off
	s_mov_b64 s[16:17], 0
	s_waitcnt vmcnt(0)
	v_cvt_f64_u32_e32 v[2:3], v2
	s_branch .LBB8_1245
.LBB8_1243:
	s_mov_b64 s[16:17], -1
                                        ; implicit-def: $vgpr2_vgpr3
	s_branch .LBB8_1248
.LBB8_1244:
	s_mov_b64 s[16:17], -1
                                        ; implicit-def: $vgpr2_vgpr3
.LBB8_1245:
	s_andn2_b64 vcc, exec, s[16:17]
	s_cbranch_vccnz .LBB8_1247
; %bb.1246:
	global_load_ushort v2, v[4:5], off
	s_waitcnt vmcnt(0)
	v_cvt_f64_u32_e32 v[2:3], v2
.LBB8_1247:
	s_mov_b64 s[16:17], 0
.LBB8_1248:
	s_andn2_b64 vcc, exec, s[16:17]
	s_cbranch_vccnz .LBB8_1258
; %bb.1249:
	global_load_ubyte v6, v[4:5], off
	s_movk_i32 s16, 0x7f
	s_waitcnt vmcnt(0)
	v_cmp_lt_i16_e32 vcc, s16, v6
	s_mov_b64 s[16:17], 0
	s_and_saveexec_b64 s[18:19], vcc
	s_xor_b64 s[18:19], exec, s[18:19]
	s_cbranch_execz .LBB8_1253
; %bb.1250:
	s_movk_i32 s16, 0x80
	v_cmp_eq_u16_e32 vcc, s16, v6
	s_mov_b64 s[16:17], -1
	s_and_saveexec_b64 s[20:21], vcc
; %bb.1251:
	s_xor_b64 s[16:17], exec, -1
; %bb.1252:
	s_or_b64 exec, exec, s[20:21]
	s_and_b64 s[16:17], s[16:17], exec
.LBB8_1253:
	s_or_saveexec_b64 s[18:19], s[18:19]
	v_bfrev_b32_e32 v2, 4
	v_mov_b32_e32 v3, 0x7ff80000
	s_xor_b64 exec, exec, s[18:19]
; %bb.1254:
	v_cmp_ne_u16_e32 vcc, 0, v6
	v_mov_b32_e32 v2, 0
	s_andn2_b64 s[16:17], s[16:17], exec
	s_and_b64 s[20:21], vcc, exec
	v_mov_b32_e32 v3, 0
	s_or_b64 s[16:17], s[16:17], s[20:21]
; %bb.1255:
	s_or_b64 exec, exec, s[18:19]
	s_and_saveexec_b64 s[18:19], s[16:17]
	s_cbranch_execz .LBB8_1257
; %bb.1256:
	v_and_b32_e32 v3, 0xffff, v6
	v_lshlrev_b32_e32 v2, 24, v6
	v_and_b32_e32 v6, 7, v3
	v_ffbh_u32_e32 v8, v6
	v_min_u32_e32 v8, 32, v8
	v_subrev_u32_e32 v9, 28, v8
	v_bfe_u32 v7, v3, 3, 4
	v_lshlrev_b32_e32 v3, v9, v3
	v_sub_u32_e32 v8, 29, v8
	v_and_b32_e32 v3, 7, v3
	v_cmp_eq_u32_e32 vcc, 0, v7
	v_cndmask_b32_e32 v7, v7, v8, vcc
	v_cndmask_b32_e32 v3, v6, v3, vcc
	v_mov_b32_e32 v6, 0x3b800000
	v_lshlrev_b32_e32 v3, 20, v3
	v_and_b32_e32 v2, 0x80000000, v2
	v_lshl_add_u32 v6, v7, 23, v6
	v_or3_b32 v2, v2, v6, v3
	v_cvt_f64_f32_e32 v[2:3], v2
.LBB8_1257:
	s_or_b64 exec, exec, s[18:19]
.LBB8_1258:
	s_mov_b64 s[16:17], -1
.LBB8_1259:
	s_branch .LBB8_1290
.LBB8_1260:
	s_cmp_gt_i32 s22, 22
	s_cbranch_scc0 .LBB8_1272
; %bb.1261:
	s_cmp_lt_i32 s22, 24
	s_cbranch_scc1 .LBB8_1273
; %bb.1262:
	s_cmp_gt_i32 s22, 24
	s_cbranch_scc0 .LBB8_1274
; %bb.1263:
	global_load_ubyte v6, v[4:5], off
	s_movk_i32 s12, 0x7f
	s_waitcnt vmcnt(0)
	v_cmp_lt_i16_e32 vcc, s12, v6
	s_mov_b64 s[12:13], 0
	s_and_saveexec_b64 s[16:17], vcc
	s_xor_b64 s[16:17], exec, s[16:17]
	s_cbranch_execz .LBB8_1267
; %bb.1264:
	s_movk_i32 s12, 0x80
	v_cmp_eq_u16_e32 vcc, s12, v6
	s_mov_b64 s[12:13], -1
	s_and_saveexec_b64 s[18:19], vcc
; %bb.1265:
	s_xor_b64 s[12:13], exec, -1
; %bb.1266:
	s_or_b64 exec, exec, s[18:19]
	s_and_b64 s[12:13], s[12:13], exec
.LBB8_1267:
	s_or_saveexec_b64 s[16:17], s[16:17]
	v_bfrev_b32_e32 v2, 4
	v_mov_b32_e32 v3, 0x7ff80000
	s_xor_b64 exec, exec, s[16:17]
; %bb.1268:
	v_cmp_ne_u16_e32 vcc, 0, v6
	v_mov_b32_e32 v2, 0
	s_andn2_b64 s[12:13], s[12:13], exec
	s_and_b64 s[18:19], vcc, exec
	v_mov_b32_e32 v3, 0
	s_or_b64 s[12:13], s[12:13], s[18:19]
; %bb.1269:
	s_or_b64 exec, exec, s[16:17]
	s_and_saveexec_b64 s[16:17], s[12:13]
	s_cbranch_execz .LBB8_1271
; %bb.1270:
	v_and_b32_e32 v3, 0xffff, v6
	v_lshlrev_b32_e32 v2, 24, v6
	v_and_b32_e32 v6, 3, v3
	v_ffbh_u32_e32 v8, v6
	v_min_u32_e32 v8, 32, v8
	v_subrev_u32_e32 v9, 29, v8
	v_bfe_u32 v7, v3, 2, 5
	v_lshlrev_b32_e32 v3, v9, v3
	v_sub_u32_e32 v8, 30, v8
	v_and_b32_e32 v3, 3, v3
	v_cmp_eq_u32_e32 vcc, 0, v7
	v_cndmask_b32_e32 v7, v7, v8, vcc
	v_cndmask_b32_e32 v3, v6, v3, vcc
	v_mov_b32_e32 v6, 0x37800000
	v_lshlrev_b32_e32 v3, 21, v3
	v_and_b32_e32 v2, 0x80000000, v2
	v_lshl_add_u32 v6, v7, 23, v6
	v_or3_b32 v2, v2, v6, v3
	v_cvt_f64_f32_e32 v[2:3], v2
.LBB8_1271:
	s_or_b64 exec, exec, s[16:17]
	s_mov_b64 s[12:13], 0
	s_branch .LBB8_1275
.LBB8_1272:
	s_mov_b64 s[12:13], -1
                                        ; implicit-def: $vgpr2_vgpr3
	s_branch .LBB8_1281
.LBB8_1273:
	s_mov_b64 s[12:13], -1
                                        ; implicit-def: $vgpr2_vgpr3
	s_branch .LBB8_1278
.LBB8_1274:
	s_mov_b64 s[12:13], -1
                                        ; implicit-def: $vgpr2_vgpr3
.LBB8_1275:
	s_and_b64 vcc, exec, s[12:13]
	s_cbranch_vccz .LBB8_1277
; %bb.1276:
	global_load_ubyte v2, v[4:5], off
	s_mov_b32 s12, 0x7f800000
	s_waitcnt vmcnt(0)
	v_lshlrev_b32_e32 v2, 24, v2
	v_and_b32_e32 v3, 0x7f000000, v2
	v_ffbh_u32_e32 v6, v3
	v_min_u32_e32 v6, 32, v6
	v_sub_u32_e64 v6, v6, 4 clamp
	v_lshlrev_b32_e32 v8, v6, v3
	v_lshlrev_b32_e32 v6, 23, v6
	v_lshrrev_b32_e32 v8, 4, v8
	v_add_u32_e32 v7, 0x1000000, v3
	v_sub_u32_e32 v6, v8, v6
	v_ashrrev_i32_e32 v7, 8, v7
	v_add_u32_e32 v6, 0x3c000000, v6
	v_and_or_b32 v6, v7, s12, v6
	v_cmp_ne_u32_e32 vcc, 0, v3
	v_cndmask_b32_e32 v3, 0, v6, vcc
	s_brev_b32 s12, 1
	v_and_or_b32 v2, v2, s12, v3
	v_cvt_f64_f32_e32 v[2:3], v2
.LBB8_1277:
	s_mov_b64 s[12:13], 0
.LBB8_1278:
	s_andn2_b64 vcc, exec, s[12:13]
	s_cbranch_vccnz .LBB8_1280
; %bb.1279:
	global_load_ubyte v2, v[4:5], off
	s_movk_i32 s12, 0x7f00
	s_brev_b32 s13, 16
	s_waitcnt vmcnt(0)
	v_lshlrev_b16_e32 v3, 8, v2
	v_lshlrev_b32_e32 v2, 25, v2
	v_lshrrev_b32_e32 v6, 4, v2
	v_and_or_b32 v7, v3, s12, 0.5
	v_or_b32_e32 v6, 0x70000000, v6
	v_add_f32_e32 v7, -0.5, v7
	v_mul_f32_e32 v6, 0x7800000, v6
	v_cmp_gt_u32_e32 vcc, s13, v2
	v_bfe_i32 v3, v3, 0, 16
	v_cndmask_b32_e32 v2, v6, v7, vcc
	s_brev_b32 s12, 1
	v_and_or_b32 v2, v3, s12, v2
	v_cvt_f64_f32_e32 v[2:3], v2
.LBB8_1280:
	s_mov_b64 s[12:13], 0
	s_mov_b64 s[16:17], -1
.LBB8_1281:
	s_andn2_b64 vcc, exec, s[12:13]
	s_mov_b64 s[12:13], 0
	s_cbranch_vccnz .LBB8_1290
; %bb.1282:
	s_cmp_gt_i32 s22, 14
	s_cbranch_scc0 .LBB8_1285
; %bb.1283:
	s_cmp_eq_u32 s22, 15
	s_cbranch_scc0 .LBB8_1286
; %bb.1284:
	global_load_ushort v2, v[4:5], off
	s_mov_b64 s[0:1], 0
	s_mov_b64 s[16:17], -1
	s_waitcnt vmcnt(0)
	v_lshlrev_b32_e32 v2, 16, v2
	v_cvt_f64_f32_e32 v[2:3], v2
	s_branch .LBB8_1287
.LBB8_1285:
	s_mov_b64 s[18:19], -1
                                        ; implicit-def: $vgpr2_vgpr3
	s_branch .LBB8_1288
.LBB8_1286:
	s_mov_b64 s[0:1], -1
                                        ; implicit-def: $vgpr2_vgpr3
.LBB8_1287:
	s_mov_b64 s[18:19], 0
.LBB8_1288:
	s_and_b64 vcc, exec, s[18:19]
	s_cbranch_vccz .LBB8_1290
; %bb.1289:
	s_cmp_lg_u32 s22, 11
	s_mov_b64 s[12:13], -1
	s_cselect_b64 s[0:1], -1, 0
.LBB8_1290:
	s_and_b64 vcc, exec, s[0:1]
	s_cbranch_vccnz .LBB8_1365
; %bb.1291:
	s_andn2_b64 vcc, exec, s[12:13]
	s_cbranch_vccnz .LBB8_1293
.LBB8_1292:
	global_load_ubyte v3, v[4:5], off
	v_mov_b32_e32 v6, 0x3ff00000
	v_mov_b32_e32 v2, 0
	s_mov_b64 s[16:17], -1
	s_waitcnt vmcnt(0)
	v_cmp_ne_u16_e32 vcc, 0, v3
	v_cndmask_b32_e32 v3, 0, v6, vcc
.LBB8_1293:
	s_branch .LBB8_1220
.LBB8_1294:
	s_cmp_lt_i32 s22, 5
	s_cbranch_scc1 .LBB8_1299
; %bb.1295:
	s_cmp_lt_i32 s22, 8
	s_cbranch_scc1 .LBB8_1300
; %bb.1296:
	;; [unrolled: 3-line block ×3, first 2 shown]
	s_cmp_gt_i32 s22, 9
	s_cbranch_scc0 .LBB8_1302
; %bb.1298:
	global_load_dwordx2 v[2:3], v[4:5], off
	s_mov_b64 s[0:1], 0
	s_branch .LBB8_1303
.LBB8_1299:
                                        ; implicit-def: $vgpr2_vgpr3
	s_branch .LBB8_1321
.LBB8_1300:
	s_mov_b64 s[0:1], -1
                                        ; implicit-def: $vgpr2_vgpr3
	s_branch .LBB8_1309
.LBB8_1301:
	s_mov_b64 s[0:1], -1
                                        ; implicit-def: $vgpr2_vgpr3
	s_branch .LBB8_1306
.LBB8_1302:
	s_mov_b64 s[0:1], -1
                                        ; implicit-def: $vgpr2_vgpr3
.LBB8_1303:
	s_andn2_b64 vcc, exec, s[0:1]
	s_cbranch_vccnz .LBB8_1305
; %bb.1304:
	global_load_dword v2, v[4:5], off
	s_waitcnt vmcnt(0)
	v_cvt_f64_f32_e32 v[2:3], v2
.LBB8_1305:
	s_mov_b64 s[0:1], 0
.LBB8_1306:
	s_andn2_b64 vcc, exec, s[0:1]
	s_cbranch_vccnz .LBB8_1308
; %bb.1307:
	global_load_dword v2, v[4:5], off
	s_waitcnt vmcnt(0)
	v_cvt_f32_f16_e32 v2, v2
	v_cvt_f64_f32_e32 v[2:3], v2
.LBB8_1308:
	s_mov_b64 s[0:1], 0
.LBB8_1309:
	s_andn2_b64 vcc, exec, s[0:1]
	s_cbranch_vccnz .LBB8_1320
; %bb.1310:
	s_cmp_lt_i32 s22, 6
	s_cbranch_scc1 .LBB8_1313
; %bb.1311:
	s_cmp_gt_i32 s22, 6
	s_cbranch_scc0 .LBB8_1314
; %bb.1312:
	global_load_dwordx2 v[2:3], v[4:5], off
	s_mov_b64 s[0:1], 0
	s_branch .LBB8_1315
.LBB8_1313:
	s_mov_b64 s[0:1], -1
                                        ; implicit-def: $vgpr2_vgpr3
	s_branch .LBB8_1318
.LBB8_1314:
	s_mov_b64 s[0:1], -1
                                        ; implicit-def: $vgpr2_vgpr3
.LBB8_1315:
	s_andn2_b64 vcc, exec, s[0:1]
	s_cbranch_vccnz .LBB8_1317
; %bb.1316:
	global_load_dword v2, v[4:5], off
	s_waitcnt vmcnt(0)
	v_cvt_f64_f32_e32 v[2:3], v2
.LBB8_1317:
	s_mov_b64 s[0:1], 0
.LBB8_1318:
	s_andn2_b64 vcc, exec, s[0:1]
	s_cbranch_vccnz .LBB8_1320
; %bb.1319:
	global_load_ushort v2, v[4:5], off
	s_waitcnt vmcnt(0)
	v_cvt_f32_f16_e32 v2, v2
	v_cvt_f64_f32_e32 v[2:3], v2
.LBB8_1320:
	s_cbranch_execnz .LBB8_1340
.LBB8_1321:
	s_cmp_lt_i32 s22, 2
	s_cbranch_scc1 .LBB8_1325
; %bb.1322:
	s_cmp_lt_i32 s22, 3
	s_cbranch_scc1 .LBB8_1326
; %bb.1323:
	s_cmp_gt_i32 s22, 3
	s_cbranch_scc0 .LBB8_1327
; %bb.1324:
	global_load_dwordx2 v[2:3], v[4:5], off
	s_mov_b64 s[0:1], 0
	s_waitcnt vmcnt(0)
	v_cvt_f64_i32_e32 v[6:7], v3
	v_cvt_f64_u32_e32 v[2:3], v2
	v_ldexp_f64 v[6:7], v[6:7], 32
	v_add_f64 v[2:3], v[6:7], v[2:3]
	s_branch .LBB8_1328
.LBB8_1325:
	s_mov_b64 s[0:1], -1
                                        ; implicit-def: $vgpr2_vgpr3
	s_branch .LBB8_1334
.LBB8_1326:
	s_mov_b64 s[0:1], -1
                                        ; implicit-def: $vgpr2_vgpr3
	s_branch .LBB8_1331
.LBB8_1327:
	s_mov_b64 s[0:1], -1
                                        ; implicit-def: $vgpr2_vgpr3
.LBB8_1328:
	s_andn2_b64 vcc, exec, s[0:1]
	s_cbranch_vccnz .LBB8_1330
; %bb.1329:
	global_load_dword v2, v[4:5], off
	s_waitcnt vmcnt(0)
	v_cvt_f64_i32_e32 v[2:3], v2
.LBB8_1330:
	s_mov_b64 s[0:1], 0
.LBB8_1331:
	s_andn2_b64 vcc, exec, s[0:1]
	s_cbranch_vccnz .LBB8_1333
; %bb.1332:
	global_load_sshort v2, v[4:5], off
	s_waitcnt vmcnt(0)
	v_cvt_f64_i32_e32 v[2:3], v2
.LBB8_1333:
	s_mov_b64 s[0:1], 0
.LBB8_1334:
	s_andn2_b64 vcc, exec, s[0:1]
	s_cbranch_vccnz .LBB8_1340
; %bb.1335:
	s_cmp_gt_i32 s22, 0
	s_cbranch_scc0 .LBB8_1337
; %bb.1336:
	global_load_sbyte v2, v[4:5], off
	s_mov_b64 s[0:1], 0
	s_waitcnt vmcnt(0)
	v_cvt_f64_i32_e32 v[2:3], v2
	s_branch .LBB8_1338
.LBB8_1337:
	s_mov_b64 s[0:1], -1
                                        ; implicit-def: $vgpr2_vgpr3
.LBB8_1338:
	s_andn2_b64 vcc, exec, s[0:1]
	s_cbranch_vccnz .LBB8_1340
; %bb.1339:
	global_load_ubyte v2, v[4:5], off
	s_waitcnt vmcnt(0)
	v_cvt_f64_u32_e32 v[2:3], v2
.LBB8_1340:
.LBB8_1341:
	s_mov_b32 s0, 0
	s_mov_b32 s1, 0x40200000
	s_waitcnt vmcnt(0)
	v_cmp_le_f64_e64 s[0:1], |v[2:3]|, s[0:1]
                                        ; implicit-def: $vgpr4_vgpr5
	s_and_saveexec_b64 s[12:13], s[0:1]
	s_xor_b64 s[0:1], exec, s[12:13]
	s_cbranch_execz .LBB8_1347
; %bb.1342:
	v_fma_f64 v[4:5], |v[2:3]|, 0.5, -2.0
	v_mov_b32_e32 v6, 0xc38a0576
	v_mov_b32_e32 v7, 0xbc7857d0
	s_mov_b32 s13, 0x3c499f2a
	s_mov_b32 s12, 0xc3c4014
	;; [unrolled: 1-line block ×4, first 2 shown]
	v_mov_b32_e32 v17, 0xfca7ab0c
	v_fma_f64 v[6:7], v[4:5], s[12:13], v[6:7]
	s_mov_b32 s13, 0xbc499f2a
	v_mov_b32_e32 v18, 0x3e928af3
	v_cmp_ngt_f64_e32 vcc, 0, v[2:3]
	v_fma_f64 v[8:9], v[4:5], v[6:7], s[12:13]
	s_mov_b32 s12, 0xe593bfac
	s_mov_b32 s13, 0x3ca663e3
	v_add_f64 v[8:9], v[8:9], s[12:13]
	s_mov_b32 s12, 0x7e0d1573
	s_mov_b32 s13, 0xbcd3eaaa
	v_fma_f64 v[6:7], v[4:5], v[8:9], -v[6:7]
	v_add_f64 v[6:7], v[6:7], s[12:13]
	s_mov_b32 s12, 0x615290c
	s_mov_b32 s13, 0x3d011d7f
	v_fma_f64 v[8:9], v[4:5], v[6:7], -v[8:9]
	;; [unrolled: 4-line block ×20, first 2 shown]
	v_add_f64 v[8:9], v[8:9], s[12:13]
	s_mov_b32 s12, 0x652b82fe
	s_mov_b32 s13, 0x3ff71547
	v_mul_f64 v[11:12], |v[2:3]|, s[12:13]
	s_mov_b32 s12, 0x7913a26a
	s_mov_b32 s13, 0xbf85a29f
	v_fma_f64 v[6:7], v[4:5], v[8:9], -v[6:7]
	v_rndne_f64_e32 v[11:12], v[11:12]
	v_add_f64 v[6:7], v[6:7], s[12:13]
	s_mov_b32 s12, 0xfefa39ef
	s_mov_b32 s13, 0xbfe62e42
	v_fma_f64 v[15:16], v[11:12], s[12:13], |v[2:3]|
	s_mov_b32 s12, 0xe7bb2349
	s_mov_b32 s13, 0x3f9951e3
	v_fma_f64 v[8:9], v[4:5], v[6:7], -v[8:9]
	v_fma_f64 v[15:16], v[11:12], s[16:17], v[15:16]
	s_mov_b32 s16, 0x623fde64
	s_mov_b32 s17, 0x3ec71dee
	v_cvt_i32_f64_e32 v11, v[11:12]
	v_add_f64 v[8:9], v[8:9], s[12:13]
	s_mov_b32 s12, 0x6a5dcb37
	s_mov_b32 s13, 0x3e5ade15
	v_fma_f64 v[17:18], v[15:16], s[12:13], v[17:18]
	s_mov_b32 s12, 0x537c9ebc
	s_mov_b32 s13, 0xbfab1bbc
	v_fma_f64 v[6:7], v[4:5], v[8:9], -v[6:7]
	v_fma_f64 v[17:18], v[15:16], v[17:18], s[16:17]
	s_mov_b32 s16, 0x14761f6e
	s_mov_b32 s17, 0x3f2a01a0
	v_add_f64 v[6:7], v[6:7], s[12:13]
	s_mov_b32 s12, 0x7c89e6b0
	s_mov_b32 s13, 0x3efa0199
	v_fma_f64 v[17:18], v[15:16], v[17:18], s[12:13]
	s_mov_b32 s12, 0xd536f53c
	s_mov_b32 s13, 0x3fba46da
	v_fma_f64 v[8:9], v[4:5], v[6:7], -v[8:9]
	v_fma_f64 v[17:18], v[15:16], v[17:18], s[16:17]
	s_mov_b32 s16, 0x11122322
	s_mov_b32 s17, 0x3f811111
	;; [unrolled: 10-line block ×3, first 2 shown]
	v_add_f64 v[6:7], v[6:7], s[12:13]
	s_mov_b32 s12, 0x555502a1
	s_mov_b32 s13, 0x3fa55555
	v_fma_f64 v[4:5], v[4:5], v[6:7], -v[8:9]
	v_fma_f64 v[6:7], v[15:16], v[17:18], s[12:13]
	s_mov_b32 s12, 0x724a7ffa
	s_mov_b32 s13, 0x3fd02a63
	v_add_f64 v[4:5], v[4:5], s[12:13]
	v_fma_f64 v[6:7], v[15:16], v[6:7], s[16:17]
	s_mov_b32 s12, 11
	s_mov_b32 s13, 0x3fe00000
	v_add_f64 v[4:5], v[4:5], -v[8:9]
	v_fma_f64 v[6:7], v[15:16], v[6:7], s[12:13]
	v_mul_f64 v[4:5], v[4:5], 0.5
	v_fma_f64 v[8:9], v[15:16], v[6:7], 1.0
	v_mul_f64 v[6:7], |v[2:3]|, v[4:5]
	v_fma_f64 v[8:9], v[15:16], v[8:9], 1.0
                                        ; implicit-def: $vgpr4_vgpr5
	s_and_saveexec_b64 s[12:13], vcc
	s_xor_b64 s[12:13], exec, s[12:13]
	s_cbranch_execz .LBB8_1344
; %bb.1343:
	s_mov_b32 s16, 0
	s_mov_b32 s17, 0x40900000
	v_ldexp_f64 v[4:5], v[8:9], v11
	v_cmp_ngt_f64_e64 vcc, |v[2:3]|, s[16:17]
	v_mov_b32_e32 v8, 0x7ff00000
                                        ; implicit-def: $vgpr11
	v_cndmask_b32_e32 v3, v8, v5, vcc
	v_cndmask_b32_e32 v2, 0, v4, vcc
	v_mul_f64 v[4:5], v[2:3], v[6:7]
                                        ; implicit-def: $vgpr8_vgpr9
                                        ; implicit-def: $vgpr2_vgpr3
                                        ; implicit-def: $vgpr6_vgpr7
.LBB8_1344:
	s_andn2_saveexec_b64 s[12:13], s[12:13]
	s_cbranch_execz .LBB8_1346
; %bb.1345:
	s_mov_b32 s16, 0
	s_mov_b32 s17, 0x40900000
	v_ldexp_f64 v[4:5], -v[8:9], v11
	v_cmp_ngt_f64_e64 vcc, |v[2:3]|, s[16:17]
	v_mov_b32_e32 v8, 0xfff00000
	v_cndmask_b32_e32 v3, v8, v5, vcc
	v_cndmask_b32_e32 v2, 0, v4, vcc
	v_mul_f64 v[4:5], v[2:3], v[6:7]
.LBB8_1346:
	s_or_b64 exec, exec, s[12:13]
                                        ; implicit-def: $vgpr2_vgpr3
.LBB8_1347:
	s_andn2_saveexec_b64 s[12:13], s[0:1]
	s_cbranch_execz .LBB8_1353
; %bb.1348:
	s_mov_b32 s0, 0
	v_and_b32_e32 v5, 0x7fffffff, v3
	v_mov_b32_e32 v4, v2
	s_mov_b32 s1, 0x40400000
	v_div_scale_f64 v[6:7], s[16:17], v[4:5], v[4:5], s[0:1]
	v_div_scale_f64 v[4:5], vcc, s[0:1], v[4:5], s[0:1]
	v_mov_b32_e32 v17, 0xfca7ab0c
	v_mov_b32_e32 v18, 0x3e928af3
	v_rcp_f64_e32 v[8:9], v[6:7]
	v_fma_f64 v[11:12], -v[6:7], v[8:9], 1.0
	v_fma_f64 v[8:9], v[8:9], v[11:12], v[8:9]
	v_fma_f64 v[11:12], -v[6:7], v[8:9], 1.0
	v_fma_f64 v[8:9], v[8:9], v[11:12], v[8:9]
	v_mul_f64 v[11:12], v[4:5], v[8:9]
	v_fma_f64 v[4:5], -v[6:7], v[11:12], v[4:5]
	v_mov_b32_e32 v6, 0xea87b950
	v_mov_b32_e32 v7, 0x3c545b8a
	v_div_fmas_f64 v[4:5], v[4:5], v[8:9], v[11:12]
	v_cmp_ngt_f64_e32 vcc, 0, v[2:3]
	v_div_fixup_f64 v[4:5], v[4:5], |v[2:3]|, s[0:1]
	s_mov_b32 s1, 0x3c61556d
	s_mov_b32 s0, 0xb352e8e6
	v_add_f64 v[4:5], v[4:5], -2.0
	v_fma_f64 v[6:7], v[4:5], s[0:1], v[6:7]
	s_mov_b32 s1, 0xbc61556d
	v_fma_f64 v[8:9], v[4:5], v[6:7], s[0:1]
	s_mov_b32 s0, 0xb2532277
	s_mov_b32 s1, 0xbc8acea3
	v_add_f64 v[8:9], v[8:9], s[0:1]
	s_mov_b32 s0, 0x9c773320
	s_mov_b32 s1, 0xbc82806c
	v_fma_f64 v[6:7], v[4:5], v[8:9], -v[6:7]
	v_add_f64 v[6:7], v[6:7], s[0:1]
	s_mov_b32 s0, 0xfceb588a
	s_mov_b32 s1, 0x3cb55915
	v_fma_f64 v[8:9], v[4:5], v[6:7], -v[8:9]
	;; [unrolled: 4-line block ×14, first 2 shown]
	v_add_f64 v[8:9], v[8:9], s[0:1]
	s_mov_b32 s0, 0x652b82fe
	s_mov_b32 s1, 0x3ff71547
	v_mul_f64 v[11:12], |v[2:3]|, s[0:1]
	s_mov_b32 s0, 0x5423dd80
	s_mov_b32 s1, 0xbe0334ca
	v_fma_f64 v[6:7], v[4:5], v[8:9], -v[6:7]
	v_rndne_f64_e32 v[11:12], v[11:12]
	v_add_f64 v[6:7], v[6:7], s[0:1]
	s_mov_b32 s0, 0xfefa39ef
	s_mov_b32 s1, 0xbfe62e42
	v_fma_f64 v[15:16], v[11:12], s[0:1], |v[2:3]|
	s_mov_b32 s0, 0x9ad53528
	s_mov_b32 s1, 0xbe30790b
	v_fma_f64 v[8:9], v[4:5], v[6:7], -v[8:9]
	v_add_f64 v[8:9], v[8:9], s[0:1]
	s_mov_b32 s0, 0x3b39803f
	s_mov_b32 s1, 0xbc7abc9e
	v_fma_f64 v[15:16], v[11:12], s[0:1], v[15:16]
	s_mov_b32 s0, 0x6a5dcb37
	s_mov_b32 s1, 0x3e5ade15
	v_cvt_i32_f64_e32 v11, v[11:12]
	v_fma_f64 v[6:7], v[4:5], v[8:9], -v[6:7]
	v_fma_f64 v[17:18], v[15:16], s[0:1], v[17:18]
	s_mov_b32 s0, 0x94bb46c1
	s_mov_b32 s1, 0xbe5c4153
	v_add_f64 v[6:7], v[6:7], s[0:1]
	s_mov_b32 s0, 0x623fde64
	s_mov_b32 s1, 0x3ec71dee
	v_fma_f64 v[17:18], v[15:16], v[17:18], s[0:1]
	s_mov_b32 s0, 0x7c89e6b0
	s_mov_b32 s1, 0x3efa0199
	v_fma_f64 v[8:9], v[4:5], v[6:7], -v[8:9]
	v_fma_f64 v[17:18], v[15:16], v[17:18], s[0:1]
	s_mov_b32 s0, 0x2e9e5443
	s_mov_b32 s1, 0xbe90dbfd
	v_add_f64 v[8:9], v[8:9], s[0:1]
	s_mov_b32 s0, 0x14761f6e
	s_mov_b32 s1, 0x3f2a01a0
	v_fma_f64 v[17:18], v[15:16], v[17:18], s[0:1]
	s_mov_b32 s0, 0x1852b7b0
	s_mov_b32 s1, 0x3f56c16c
	;; [unrolled: 10-line block ×4, first 2 shown]
	v_fma_f64 v[6:7], v[4:5], v[8:9], -v[6:7]
	v_fma_f64 v[17:18], v[15:16], v[17:18], s[0:1]
	s_mov_b32 s0, 0x53fcdb4c
	s_mov_b32 s1, 0xbf83fda0
	v_add_f64 v[6:7], v[6:7], s[0:1]
	s_mov_b32 s0, 0xb55b1514
	s_mov_b32 s1, 0x3fe8ea18
	v_fma_f64 v[17:18], v[15:16], v[17:18], 1.0
	v_fma_f64 v[4:5], v[4:5], v[6:7], -v[8:9]
	v_fma_f64 v[6:7], v[15:16], v[17:18], 1.0
	v_add_f64 v[4:5], v[4:5], s[0:1]
	s_mov_b32 s0, 0
	s_mov_b32 s1, 0x40900000
	v_ldexp_f64 v[6:7], v[6:7], v11
	v_cmp_ngt_f64_e64 s[0:1], |v[2:3]|, s[0:1]
	v_mov_b32_e32 v11, 0x7ff00000
	v_add_f64 v[8:9], v[4:5], -v[8:9]
                                        ; implicit-def: $vgpr4_vgpr5
	v_cndmask_b32_e64 v7, v11, v7, s[0:1]
	v_cndmask_b32_e64 v6, 0, v6, s[0:1]
	s_and_saveexec_b64 s[0:1], vcc
	s_xor_b64 s[0:1], exec, s[0:1]
	s_cbranch_execz .LBB8_1350
; %bb.1349:
	s_mov_b32 s16, 0
	s_brev_b32 s17, 8
	v_cmp_lt_f64_e64 vcc, |v[2:3]|, s[16:17]
	v_mov_b32_e32 v4, 0x100
	v_mul_f64 v[8:9], v[8:9], 0.5
	v_cndmask_b32_e32 v4, 0, v4, vcc
	v_ldexp_f64 v[2:3], |v[2:3]|, v4
	v_mul_f64 v[6:7], v[6:7], v[8:9]
	v_rsq_f64_e32 v[4:5], v[2:3]
	v_mul_f64 v[11:12], v[2:3], v[4:5]
	v_mul_f64 v[4:5], v[4:5], 0.5
	v_fma_f64 v[15:16], -v[4:5], v[11:12], 0.5
	v_fma_f64 v[11:12], v[11:12], v[15:16], v[11:12]
	v_fma_f64 v[4:5], v[4:5], v[15:16], v[4:5]
	v_fma_f64 v[15:16], -v[11:12], v[11:12], v[2:3]
	v_fma_f64 v[11:12], v[15:16], v[4:5], v[11:12]
	v_fma_f64 v[15:16], -v[11:12], v[11:12], v[2:3]
	v_fma_f64 v[4:5], v[15:16], v[4:5], v[11:12]
	v_mov_b32_e32 v11, 0xffffff80
	v_mov_b32_e32 v12, 0x260
	v_cndmask_b32_e32 v11, 0, v11, vcc
	v_cmp_class_f64_e32 vcc, v[2:3], v12
	v_ldexp_f64 v[4:5], v[4:5], v11
	v_cndmask_b32_e32 v3, v5, v3, vcc
	v_cndmask_b32_e32 v2, v4, v2, vcc
	v_div_scale_f64 v[4:5], s[16:17], v[2:3], v[2:3], v[6:7]
	v_div_scale_f64 v[15:16], vcc, v[6:7], v[2:3], v[6:7]
	v_rcp_f64_e32 v[8:9], v[4:5]
	v_fma_f64 v[11:12], -v[4:5], v[8:9], 1.0
	v_fma_f64 v[8:9], v[8:9], v[11:12], v[8:9]
	v_fma_f64 v[11:12], -v[4:5], v[8:9], 1.0
	v_fma_f64 v[8:9], v[8:9], v[11:12], v[8:9]
	v_mul_f64 v[11:12], v[15:16], v[8:9]
	v_fma_f64 v[4:5], -v[4:5], v[11:12], v[15:16]
	v_div_fmas_f64 v[4:5], v[4:5], v[8:9], v[11:12]
                                        ; implicit-def: $vgpr8_vgpr9
	v_div_fixup_f64 v[4:5], v[4:5], v[2:3], v[6:7]
                                        ; implicit-def: $vgpr2_vgpr3
                                        ; implicit-def: $vgpr6_vgpr7
.LBB8_1350:
	s_andn2_saveexec_b64 s[0:1], s[0:1]
	s_cbranch_execz .LBB8_1352
; %bb.1351:
	s_mov_b32 s16, 0
	s_brev_b32 s17, 8
	v_cmp_lt_f64_e64 vcc, |v[2:3]|, s[16:17]
	v_mov_b32_e32 v4, 0x100
	v_mul_f64 v[8:9], v[8:9], -0.5
	v_cndmask_b32_e32 v4, 0, v4, vcc
	v_ldexp_f64 v[2:3], |v[2:3]|, v4
	v_mul_f64 v[6:7], v[6:7], v[8:9]
	v_rsq_f64_e32 v[4:5], v[2:3]
	v_mul_f64 v[11:12], v[2:3], v[4:5]
	v_mul_f64 v[4:5], v[4:5], 0.5
	v_fma_f64 v[15:16], -v[4:5], v[11:12], 0.5
	v_fma_f64 v[11:12], v[11:12], v[15:16], v[11:12]
	v_fma_f64 v[4:5], v[4:5], v[15:16], v[4:5]
	v_fma_f64 v[15:16], -v[11:12], v[11:12], v[2:3]
	v_fma_f64 v[11:12], v[15:16], v[4:5], v[11:12]
	v_fma_f64 v[15:16], -v[11:12], v[11:12], v[2:3]
	v_fma_f64 v[4:5], v[15:16], v[4:5], v[11:12]
	v_mov_b32_e32 v11, 0xffffff80
	v_mov_b32_e32 v12, 0x260
	v_cndmask_b32_e32 v11, 0, v11, vcc
	v_cmp_class_f64_e32 vcc, v[2:3], v12
	v_ldexp_f64 v[4:5], v[4:5], v11
	v_cndmask_b32_e32 v3, v5, v3, vcc
	v_cndmask_b32_e32 v2, v4, v2, vcc
	v_div_scale_f64 v[4:5], s[16:17], v[2:3], v[2:3], v[6:7]
	v_div_scale_f64 v[15:16], vcc, v[6:7], v[2:3], v[6:7]
	v_rcp_f64_e32 v[8:9], v[4:5]
	v_fma_f64 v[11:12], -v[4:5], v[8:9], 1.0
	v_fma_f64 v[8:9], v[8:9], v[11:12], v[8:9]
	v_fma_f64 v[11:12], -v[4:5], v[8:9], 1.0
	v_fma_f64 v[8:9], v[8:9], v[11:12], v[8:9]
	v_mul_f64 v[11:12], v[15:16], v[8:9]
	v_fma_f64 v[4:5], -v[4:5], v[11:12], v[15:16]
	v_div_fmas_f64 v[4:5], v[4:5], v[8:9], v[11:12]
	v_div_fixup_f64 v[4:5], v[4:5], v[2:3], v[6:7]
.LBB8_1352:
	s_or_b64 exec, exec, s[0:1]
.LBB8_1353:
	s_or_b64 exec, exec, s[12:13]
	v_add_u32_e32 v12, s3, v10
	v_ashrrev_i32_e32 v2, 31, v12
	v_mov_b32_e32 v3, s11
	v_add_co_u32_e32 v6, vcc, s10, v12
	s_cmp_lt_i32 s22, 11
	v_addc_co_u32_e32 v7, vcc, v3, v2, vcc
	s_cbranch_scc1 .LBB8_1360
; %bb.1354:
	s_cmp_gt_i32 s22, 25
	s_mov_b64 s[12:13], 0
	s_cbranch_scc0 .LBB8_1362
; %bb.1355:
	s_cmp_gt_i32 s22, 28
	s_cbranch_scc0 .LBB8_1363
; %bb.1356:
	s_cmp_gt_i32 s22, 43
	;; [unrolled: 3-line block ×3, first 2 shown]
	s_cbranch_scc0 .LBB8_1366
; %bb.1358:
	s_cmp_eq_u32 s22, 46
	s_mov_b64 s[18:19], 0
	s_cbranch_scc0 .LBB8_1367
; %bb.1359:
	global_load_dword v2, v[6:7], off
	s_mov_b64 s[0:1], 0
	s_mov_b64 s[16:17], -1
	s_waitcnt vmcnt(0)
	v_lshlrev_b32_e32 v2, 16, v2
	v_cvt_f64_f32_e32 v[2:3], v2
	s_branch .LBB8_1368
.LBB8_1360:
	s_mov_b64 s[16:17], 0
                                        ; implicit-def: $vgpr2_vgpr3
	s_cbranch_execnz .LBB8_1434
.LBB8_1361:
	s_andn2_b64 vcc, exec, s[16:17]
	s_cbranch_vccnz .LBB8_1714
	s_branch .LBB8_1482
.LBB8_1362:
	s_mov_b64 s[18:19], -1
	s_mov_b64 s[16:17], 0
	s_mov_b64 s[0:1], 0
                                        ; implicit-def: $vgpr2_vgpr3
	s_branch .LBB8_1399
.LBB8_1363:
	s_mov_b64 s[18:19], -1
	s_mov_b64 s[16:17], 0
	s_mov_b64 s[0:1], 0
                                        ; implicit-def: $vgpr2_vgpr3
	s_branch .LBB8_1378
.LBB8_1364:
	s_mov_b64 s[18:19], -1
	s_mov_b64 s[16:17], 0
	s_mov_b64 s[0:1], 0
                                        ; implicit-def: $vgpr2_vgpr3
	s_branch .LBB8_1373
.LBB8_1365:
	s_trap 2
	s_or_b64 s[14:15], s[14:15], exec
	s_cbranch_execz .LBB8_1292
	s_branch .LBB8_1293
.LBB8_1366:
	s_mov_b64 s[18:19], -1
	s_mov_b64 s[16:17], 0
	s_mov_b64 s[0:1], 0
                                        ; implicit-def: $vgpr2_vgpr3
	s_branch .LBB8_1368
.LBB8_1367:
	s_mov_b64 s[0:1], -1
                                        ; implicit-def: $vgpr2_vgpr3
	s_mov_b64 s[16:17], 0
.LBB8_1368:
	s_and_b64 vcc, exec, s[18:19]
	s_cbranch_vccz .LBB8_1372
; %bb.1369:
	s_cmp_eq_u32 s22, 44
	s_cbranch_scc0 .LBB8_1371
; %bb.1370:
	global_load_ubyte v8, v[6:7], off
	s_movk_i32 s16, 0xff
	v_bfrev_b32_e32 v9, 4
	v_mov_b32_e32 v10, 0x7ff80000
	v_bfrev_b32_e32 v11, 28
	s_mov_b64 s[0:1], 0
	s_waitcnt vmcnt(0)
	v_lshlrev_b32_e32 v2, 23, v8
	v_cvt_f64_f32_e32 v[2:3], v2
	v_cmp_ne_u32_e32 vcc, s16, v8
	s_mov_b64 s[16:17], -1
	v_cndmask_b32_e32 v2, v9, v2, vcc
	v_cndmask_b32_e32 v3, v10, v3, vcc
	v_cmp_ne_u32_e32 vcc, 0, v8
	v_cndmask_b32_e32 v3, v11, v3, vcc
	v_cndmask_b32_e32 v2, 0, v2, vcc
	s_branch .LBB8_1372
.LBB8_1371:
	s_mov_b64 s[0:1], -1
                                        ; implicit-def: $vgpr2_vgpr3
.LBB8_1372:
	s_mov_b64 s[18:19], 0
.LBB8_1373:
	s_and_b64 vcc, exec, s[18:19]
	s_cbranch_vccz .LBB8_1377
; %bb.1374:
	s_cmp_eq_u32 s22, 29
	s_cbranch_scc0 .LBB8_1376
; %bb.1375:
	global_load_dwordx2 v[2:3], v[6:7], off
	s_mov_b64 s[0:1], 0
	s_mov_b64 s[16:17], -1
	s_mov_b64 s[18:19], 0
	s_waitcnt vmcnt(0)
	v_cvt_f64_u32_e32 v[8:9], v3
	v_cvt_f64_u32_e32 v[2:3], v2
	v_ldexp_f64 v[8:9], v[8:9], 32
	v_add_f64 v[2:3], v[8:9], v[2:3]
	s_branch .LBB8_1378
.LBB8_1376:
	s_mov_b64 s[0:1], -1
                                        ; implicit-def: $vgpr2_vgpr3
.LBB8_1377:
	s_mov_b64 s[18:19], 0
.LBB8_1378:
	s_and_b64 vcc, exec, s[18:19]
	s_cbranch_vccz .LBB8_1398
; %bb.1379:
	s_cmp_lt_i32 s22, 27
	s_cbranch_scc1 .LBB8_1382
; %bb.1380:
	s_cmp_gt_i32 s22, 27
	s_cbranch_scc0 .LBB8_1383
; %bb.1381:
	global_load_dword v2, v[6:7], off
	s_mov_b64 s[16:17], 0
	s_waitcnt vmcnt(0)
	v_cvt_f64_u32_e32 v[2:3], v2
	s_branch .LBB8_1384
.LBB8_1382:
	s_mov_b64 s[16:17], -1
                                        ; implicit-def: $vgpr2_vgpr3
	s_branch .LBB8_1387
.LBB8_1383:
	s_mov_b64 s[16:17], -1
                                        ; implicit-def: $vgpr2_vgpr3
.LBB8_1384:
	s_andn2_b64 vcc, exec, s[16:17]
	s_cbranch_vccnz .LBB8_1386
; %bb.1385:
	global_load_ushort v2, v[6:7], off
	s_waitcnt vmcnt(0)
	v_cvt_f64_u32_e32 v[2:3], v2
.LBB8_1386:
	s_mov_b64 s[16:17], 0
.LBB8_1387:
	s_andn2_b64 vcc, exec, s[16:17]
	s_cbranch_vccnz .LBB8_1397
; %bb.1388:
	global_load_ubyte v8, v[6:7], off
	s_movk_i32 s16, 0x7f
	s_waitcnt vmcnt(0)
	v_cmp_lt_i16_e32 vcc, s16, v8
	s_mov_b64 s[16:17], 0
	s_and_saveexec_b64 s[18:19], vcc
	s_xor_b64 s[18:19], exec, s[18:19]
	s_cbranch_execz .LBB8_1392
; %bb.1389:
	s_movk_i32 s16, 0x80
	v_cmp_eq_u16_e32 vcc, s16, v8
	s_mov_b64 s[16:17], -1
	s_and_saveexec_b64 s[20:21], vcc
; %bb.1390:
	s_xor_b64 s[16:17], exec, -1
; %bb.1391:
	s_or_b64 exec, exec, s[20:21]
	s_and_b64 s[16:17], s[16:17], exec
.LBB8_1392:
	s_or_saveexec_b64 s[18:19], s[18:19]
	v_bfrev_b32_e32 v2, 4
	v_mov_b32_e32 v3, 0x7ff80000
	s_xor_b64 exec, exec, s[18:19]
; %bb.1393:
	v_cmp_ne_u16_e32 vcc, 0, v8
	v_mov_b32_e32 v2, 0
	s_andn2_b64 s[16:17], s[16:17], exec
	s_and_b64 s[20:21], vcc, exec
	v_mov_b32_e32 v3, 0
	s_or_b64 s[16:17], s[16:17], s[20:21]
; %bb.1394:
	s_or_b64 exec, exec, s[18:19]
	s_and_saveexec_b64 s[18:19], s[16:17]
	s_cbranch_execz .LBB8_1396
; %bb.1395:
	v_and_b32_e32 v3, 0xffff, v8
	v_lshlrev_b32_e32 v2, 24, v8
	v_and_b32_e32 v8, 7, v3
	v_ffbh_u32_e32 v10, v8
	v_min_u32_e32 v10, 32, v10
	v_subrev_u32_e32 v11, 28, v10
	v_bfe_u32 v9, v3, 3, 4
	v_lshlrev_b32_e32 v3, v11, v3
	v_sub_u32_e32 v10, 29, v10
	v_and_b32_e32 v3, 7, v3
	v_cmp_eq_u32_e32 vcc, 0, v9
	v_cndmask_b32_e32 v9, v9, v10, vcc
	v_cndmask_b32_e32 v3, v8, v3, vcc
	v_mov_b32_e32 v8, 0x3b800000
	v_lshlrev_b32_e32 v3, 20, v3
	v_and_b32_e32 v2, 0x80000000, v2
	v_lshl_add_u32 v8, v9, 23, v8
	v_or3_b32 v2, v2, v8, v3
	v_cvt_f64_f32_e32 v[2:3], v2
.LBB8_1396:
	s_or_b64 exec, exec, s[18:19]
.LBB8_1397:
	s_mov_b64 s[16:17], -1
.LBB8_1398:
	s_mov_b64 s[18:19], 0
.LBB8_1399:
	s_and_b64 vcc, exec, s[18:19]
	s_cbranch_vccz .LBB8_1430
; %bb.1400:
	s_cmp_gt_i32 s22, 22
	s_cbranch_scc0 .LBB8_1412
; %bb.1401:
	s_cmp_lt_i32 s22, 24
	s_cbranch_scc1 .LBB8_1413
; %bb.1402:
	s_cmp_gt_i32 s22, 24
	s_cbranch_scc0 .LBB8_1414
; %bb.1403:
	global_load_ubyte v8, v[6:7], off
	s_movk_i32 s12, 0x7f
	s_waitcnt vmcnt(0)
	v_cmp_lt_i16_e32 vcc, s12, v8
	s_mov_b64 s[12:13], 0
	s_and_saveexec_b64 s[16:17], vcc
	s_xor_b64 s[16:17], exec, s[16:17]
	s_cbranch_execz .LBB8_1407
; %bb.1404:
	s_movk_i32 s12, 0x80
	v_cmp_eq_u16_e32 vcc, s12, v8
	s_mov_b64 s[12:13], -1
	s_and_saveexec_b64 s[18:19], vcc
; %bb.1405:
	s_xor_b64 s[12:13], exec, -1
; %bb.1406:
	s_or_b64 exec, exec, s[18:19]
	s_and_b64 s[12:13], s[12:13], exec
.LBB8_1407:
	s_or_saveexec_b64 s[16:17], s[16:17]
	v_bfrev_b32_e32 v2, 4
	v_mov_b32_e32 v3, 0x7ff80000
	s_xor_b64 exec, exec, s[16:17]
; %bb.1408:
	v_cmp_ne_u16_e32 vcc, 0, v8
	v_mov_b32_e32 v2, 0
	s_andn2_b64 s[12:13], s[12:13], exec
	s_and_b64 s[18:19], vcc, exec
	v_mov_b32_e32 v3, 0
	s_or_b64 s[12:13], s[12:13], s[18:19]
; %bb.1409:
	s_or_b64 exec, exec, s[16:17]
	s_and_saveexec_b64 s[16:17], s[12:13]
	s_cbranch_execz .LBB8_1411
; %bb.1410:
	v_and_b32_e32 v3, 0xffff, v8
	v_lshlrev_b32_e32 v2, 24, v8
	v_and_b32_e32 v8, 3, v3
	v_ffbh_u32_e32 v10, v8
	v_min_u32_e32 v10, 32, v10
	v_subrev_u32_e32 v11, 29, v10
	v_bfe_u32 v9, v3, 2, 5
	v_lshlrev_b32_e32 v3, v11, v3
	v_sub_u32_e32 v10, 30, v10
	v_and_b32_e32 v3, 3, v3
	v_cmp_eq_u32_e32 vcc, 0, v9
	v_cndmask_b32_e32 v9, v9, v10, vcc
	v_cndmask_b32_e32 v3, v8, v3, vcc
	v_mov_b32_e32 v8, 0x37800000
	v_lshlrev_b32_e32 v3, 21, v3
	v_and_b32_e32 v2, 0x80000000, v2
	v_lshl_add_u32 v8, v9, 23, v8
	v_or3_b32 v2, v2, v8, v3
	v_cvt_f64_f32_e32 v[2:3], v2
.LBB8_1411:
	s_or_b64 exec, exec, s[16:17]
	s_mov_b64 s[12:13], 0
	s_branch .LBB8_1415
.LBB8_1412:
	s_mov_b64 s[12:13], -1
                                        ; implicit-def: $vgpr2_vgpr3
	s_branch .LBB8_1421
.LBB8_1413:
	s_mov_b64 s[12:13], -1
                                        ; implicit-def: $vgpr2_vgpr3
	s_branch .LBB8_1418
.LBB8_1414:
	s_mov_b64 s[12:13], -1
                                        ; implicit-def: $vgpr2_vgpr3
.LBB8_1415:
	s_and_b64 vcc, exec, s[12:13]
	s_cbranch_vccz .LBB8_1417
; %bb.1416:
	global_load_ubyte v2, v[6:7], off
	s_mov_b32 s12, 0x7f800000
	s_waitcnt vmcnt(0)
	v_lshlrev_b32_e32 v2, 24, v2
	v_and_b32_e32 v3, 0x7f000000, v2
	v_ffbh_u32_e32 v8, v3
	v_min_u32_e32 v8, 32, v8
	v_sub_u32_e64 v8, v8, 4 clamp
	v_lshlrev_b32_e32 v10, v8, v3
	v_lshlrev_b32_e32 v8, 23, v8
	v_lshrrev_b32_e32 v10, 4, v10
	v_add_u32_e32 v9, 0x1000000, v3
	v_sub_u32_e32 v8, v10, v8
	v_ashrrev_i32_e32 v9, 8, v9
	v_add_u32_e32 v8, 0x3c000000, v8
	v_and_or_b32 v8, v9, s12, v8
	v_cmp_ne_u32_e32 vcc, 0, v3
	v_cndmask_b32_e32 v3, 0, v8, vcc
	s_brev_b32 s12, 1
	v_and_or_b32 v2, v2, s12, v3
	v_cvt_f64_f32_e32 v[2:3], v2
.LBB8_1417:
	s_mov_b64 s[12:13], 0
.LBB8_1418:
	s_andn2_b64 vcc, exec, s[12:13]
	s_cbranch_vccnz .LBB8_1420
; %bb.1419:
	global_load_ubyte v2, v[6:7], off
	s_movk_i32 s12, 0x7f00
	s_brev_b32 s13, 16
	s_waitcnt vmcnt(0)
	v_lshlrev_b16_e32 v3, 8, v2
	v_lshlrev_b32_e32 v2, 25, v2
	v_lshrrev_b32_e32 v8, 4, v2
	v_and_or_b32 v9, v3, s12, 0.5
	v_or_b32_e32 v8, 0x70000000, v8
	v_add_f32_e32 v9, -0.5, v9
	v_mul_f32_e32 v8, 0x7800000, v8
	v_cmp_gt_u32_e32 vcc, s13, v2
	v_bfe_i32 v3, v3, 0, 16
	v_cndmask_b32_e32 v2, v8, v9, vcc
	s_brev_b32 s12, 1
	v_and_or_b32 v2, v3, s12, v2
	v_cvt_f64_f32_e32 v[2:3], v2
.LBB8_1420:
	s_mov_b64 s[12:13], 0
	s_mov_b64 s[16:17], -1
.LBB8_1421:
	s_andn2_b64 vcc, exec, s[12:13]
	s_mov_b64 s[12:13], 0
	s_cbranch_vccnz .LBB8_1430
; %bb.1422:
	s_cmp_gt_i32 s22, 14
	s_cbranch_scc0 .LBB8_1425
; %bb.1423:
	s_cmp_eq_u32 s22, 15
	s_cbranch_scc0 .LBB8_1426
; %bb.1424:
	global_load_ushort v2, v[6:7], off
	s_mov_b64 s[0:1], 0
	s_mov_b64 s[16:17], -1
	s_waitcnt vmcnt(0)
	v_lshlrev_b32_e32 v2, 16, v2
	v_cvt_f64_f32_e32 v[2:3], v2
	s_branch .LBB8_1427
.LBB8_1425:
	s_mov_b64 s[18:19], -1
                                        ; implicit-def: $vgpr2_vgpr3
	s_branch .LBB8_1428
.LBB8_1426:
	s_mov_b64 s[0:1], -1
                                        ; implicit-def: $vgpr2_vgpr3
.LBB8_1427:
	s_mov_b64 s[18:19], 0
.LBB8_1428:
	s_and_b64 vcc, exec, s[18:19]
	s_cbranch_vccz .LBB8_1430
; %bb.1429:
	s_cmp_lg_u32 s22, 11
	s_mov_b64 s[12:13], -1
	s_cselect_b64 s[0:1], -1, 0
.LBB8_1430:
	s_and_b64 vcc, exec, s[0:1]
	s_cbranch_vccnz .LBB8_1505
; %bb.1431:
	s_andn2_b64 vcc, exec, s[12:13]
	s_cbranch_vccnz .LBB8_1433
.LBB8_1432:
	global_load_ubyte v3, v[6:7], off
	v_mov_b32_e32 v8, 0x3ff00000
	v_mov_b32_e32 v2, 0
	s_mov_b64 s[16:17], -1
	s_waitcnt vmcnt(0)
	v_cmp_ne_u16_e32 vcc, 0, v3
	v_cndmask_b32_e32 v3, 0, v8, vcc
.LBB8_1433:
	s_branch .LBB8_1361
.LBB8_1434:
	s_cmp_lt_i32 s22, 5
	s_cbranch_scc1 .LBB8_1439
; %bb.1435:
	s_cmp_lt_i32 s22, 8
	s_cbranch_scc1 .LBB8_1440
; %bb.1436:
	;; [unrolled: 3-line block ×3, first 2 shown]
	s_cmp_gt_i32 s22, 9
	s_cbranch_scc0 .LBB8_1442
; %bb.1438:
	global_load_dwordx2 v[2:3], v[6:7], off
	s_mov_b64 s[0:1], 0
	s_branch .LBB8_1443
.LBB8_1439:
	s_mov_b64 s[0:1], -1
                                        ; implicit-def: $vgpr2_vgpr3
	s_branch .LBB8_1461
.LBB8_1440:
	s_mov_b64 s[0:1], -1
                                        ; implicit-def: $vgpr2_vgpr3
	s_branch .LBB8_1449
.LBB8_1441:
	s_mov_b64 s[0:1], -1
                                        ; implicit-def: $vgpr2_vgpr3
	s_branch .LBB8_1446
.LBB8_1442:
	s_mov_b64 s[0:1], -1
                                        ; implicit-def: $vgpr2_vgpr3
.LBB8_1443:
	s_andn2_b64 vcc, exec, s[0:1]
	s_cbranch_vccnz .LBB8_1445
; %bb.1444:
	global_load_dword v2, v[6:7], off
	s_waitcnt vmcnt(0)
	v_cvt_f64_f32_e32 v[2:3], v2
.LBB8_1445:
	s_mov_b64 s[0:1], 0
.LBB8_1446:
	s_andn2_b64 vcc, exec, s[0:1]
	s_cbranch_vccnz .LBB8_1448
; %bb.1447:
	global_load_dword v2, v[6:7], off
	s_waitcnt vmcnt(0)
	v_cvt_f32_f16_e32 v2, v2
	v_cvt_f64_f32_e32 v[2:3], v2
.LBB8_1448:
	s_mov_b64 s[0:1], 0
.LBB8_1449:
	s_andn2_b64 vcc, exec, s[0:1]
	s_cbranch_vccnz .LBB8_1460
; %bb.1450:
	s_cmp_lt_i32 s22, 6
	s_cbranch_scc1 .LBB8_1453
; %bb.1451:
	s_cmp_gt_i32 s22, 6
	s_cbranch_scc0 .LBB8_1454
; %bb.1452:
	global_load_dwordx2 v[2:3], v[6:7], off
	s_mov_b64 s[0:1], 0
	s_branch .LBB8_1455
.LBB8_1453:
	s_mov_b64 s[0:1], -1
                                        ; implicit-def: $vgpr2_vgpr3
	s_branch .LBB8_1458
.LBB8_1454:
	s_mov_b64 s[0:1], -1
                                        ; implicit-def: $vgpr2_vgpr3
.LBB8_1455:
	s_andn2_b64 vcc, exec, s[0:1]
	s_cbranch_vccnz .LBB8_1457
; %bb.1456:
	global_load_dword v2, v[6:7], off
	s_waitcnt vmcnt(0)
	v_cvt_f64_f32_e32 v[2:3], v2
.LBB8_1457:
	s_mov_b64 s[0:1], 0
.LBB8_1458:
	s_andn2_b64 vcc, exec, s[0:1]
	s_cbranch_vccnz .LBB8_1460
; %bb.1459:
	global_load_ushort v2, v[6:7], off
	s_waitcnt vmcnt(0)
	v_cvt_f32_f16_e32 v2, v2
	v_cvt_f64_f32_e32 v[2:3], v2
.LBB8_1460:
	s_mov_b64 s[0:1], 0
.LBB8_1461:
	s_andn2_b64 vcc, exec, s[0:1]
	s_cbranch_vccnz .LBB8_1481
; %bb.1462:
	s_cmp_lt_i32 s22, 2
	s_cbranch_scc1 .LBB8_1466
; %bb.1463:
	s_cmp_lt_i32 s22, 3
	s_cbranch_scc1 .LBB8_1467
; %bb.1464:
	s_cmp_gt_i32 s22, 3
	s_cbranch_scc0 .LBB8_1468
; %bb.1465:
	global_load_dwordx2 v[2:3], v[6:7], off
	s_mov_b64 s[0:1], 0
	s_waitcnt vmcnt(0)
	v_cvt_f64_i32_e32 v[8:9], v3
	v_cvt_f64_u32_e32 v[2:3], v2
	v_ldexp_f64 v[8:9], v[8:9], 32
	v_add_f64 v[2:3], v[8:9], v[2:3]
	s_branch .LBB8_1469
.LBB8_1466:
	s_mov_b64 s[0:1], -1
                                        ; implicit-def: $vgpr2_vgpr3
	s_branch .LBB8_1475
.LBB8_1467:
	s_mov_b64 s[0:1], -1
                                        ; implicit-def: $vgpr2_vgpr3
	s_branch .LBB8_1472
.LBB8_1468:
	s_mov_b64 s[0:1], -1
                                        ; implicit-def: $vgpr2_vgpr3
.LBB8_1469:
	s_andn2_b64 vcc, exec, s[0:1]
	s_cbranch_vccnz .LBB8_1471
; %bb.1470:
	global_load_dword v2, v[6:7], off
	s_waitcnt vmcnt(0)
	v_cvt_f64_i32_e32 v[2:3], v2
.LBB8_1471:
	s_mov_b64 s[0:1], 0
.LBB8_1472:
	s_andn2_b64 vcc, exec, s[0:1]
	s_cbranch_vccnz .LBB8_1474
; %bb.1473:
	global_load_sshort v2, v[6:7], off
	s_waitcnt vmcnt(0)
	v_cvt_f64_i32_e32 v[2:3], v2
.LBB8_1474:
	s_mov_b64 s[0:1], 0
.LBB8_1475:
	s_andn2_b64 vcc, exec, s[0:1]
	s_cbranch_vccnz .LBB8_1481
; %bb.1476:
	s_cmp_gt_i32 s22, 0
	s_cbranch_scc0 .LBB8_1478
; %bb.1477:
	global_load_sbyte v2, v[6:7], off
	s_mov_b64 s[0:1], 0
	s_waitcnt vmcnt(0)
	v_cvt_f64_i32_e32 v[2:3], v2
	s_branch .LBB8_1479
.LBB8_1478:
	s_mov_b64 s[0:1], -1
                                        ; implicit-def: $vgpr2_vgpr3
.LBB8_1479:
	s_andn2_b64 vcc, exec, s[0:1]
	s_cbranch_vccnz .LBB8_1481
; %bb.1480:
	global_load_ubyte v2, v[6:7], off
	s_waitcnt vmcnt(0)
	v_cvt_f64_u32_e32 v[2:3], v2
.LBB8_1481:
.LBB8_1482:
	s_mov_b32 s0, 0
	s_mov_b32 s1, 0x40200000
	s_waitcnt vmcnt(0)
	v_cmp_le_f64_e64 s[0:1], |v[2:3]|, s[0:1]
                                        ; implicit-def: $vgpr8_vgpr9
	s_and_saveexec_b64 s[12:13], s[0:1]
	s_xor_b64 s[0:1], exec, s[12:13]
	s_cbranch_execz .LBB8_1488
; %bb.1483:
	v_fma_f64 v[6:7], |v[2:3]|, 0.5, -2.0
	v_mov_b32_e32 v8, 0xc38a0576
	v_mov_b32_e32 v9, 0xbc7857d0
	s_mov_b32 s13, 0x3c499f2a
	s_mov_b32 s12, 0xc3c4014
	s_mov_b32 s16, 0x3b39803f
	s_mov_b32 s17, 0xbc7abc9e
	v_mov_b32_e32 v19, 0xfca7ab0c
	v_fma_f64 v[8:9], v[6:7], s[12:13], v[8:9]
	s_mov_b32 s13, 0xbc499f2a
	v_mov_b32_e32 v20, 0x3e928af3
	v_cmp_ngt_f64_e32 vcc, 0, v[2:3]
	v_fma_f64 v[10:11], v[6:7], v[8:9], s[12:13]
	s_mov_b32 s12, 0xe593bfac
	s_mov_b32 s13, 0x3ca663e3
	v_add_f64 v[10:11], v[10:11], s[12:13]
	s_mov_b32 s12, 0x7e0d1573
	s_mov_b32 s13, 0xbcd3eaaa
	v_fma_f64 v[8:9], v[6:7], v[10:11], -v[8:9]
	v_add_f64 v[8:9], v[8:9], s[12:13]
	s_mov_b32 s12, 0x615290c
	s_mov_b32 s13, 0x3d011d7f
	v_fma_f64 v[10:11], v[6:7], v[8:9], -v[10:11]
	;; [unrolled: 4-line block ×20, first 2 shown]
	v_add_f64 v[10:11], v[10:11], s[12:13]
	s_mov_b32 s12, 0x652b82fe
	s_mov_b32 s13, 0x3ff71547
	v_mul_f64 v[15:16], |v[2:3]|, s[12:13]
	s_mov_b32 s12, 0x7913a26a
	s_mov_b32 s13, 0xbf85a29f
	v_fma_f64 v[8:9], v[6:7], v[10:11], -v[8:9]
	v_rndne_f64_e32 v[15:16], v[15:16]
	v_add_f64 v[8:9], v[8:9], s[12:13]
	s_mov_b32 s12, 0xfefa39ef
	s_mov_b32 s13, 0xbfe62e42
	v_fma_f64 v[17:18], v[15:16], s[12:13], |v[2:3]|
	s_mov_b32 s12, 0xe7bb2349
	s_mov_b32 s13, 0x3f9951e3
	v_cvt_i32_f64_e32 v13, v[15:16]
	v_fma_f64 v[10:11], v[6:7], v[8:9], -v[10:11]
	v_fma_f64 v[17:18], v[15:16], s[16:17], v[17:18]
	s_mov_b32 s16, 0x623fde64
	s_mov_b32 s17, 0x3ec71dee
	v_add_f64 v[10:11], v[10:11], s[12:13]
	s_mov_b32 s12, 0x6a5dcb37
	s_mov_b32 s13, 0x3e5ade15
	v_fma_f64 v[19:20], v[17:18], s[12:13], v[19:20]
	s_mov_b32 s12, 0x537c9ebc
	s_mov_b32 s13, 0xbfab1bbc
	v_fma_f64 v[8:9], v[6:7], v[10:11], -v[8:9]
	v_fma_f64 v[19:20], v[17:18], v[19:20], s[16:17]
	s_mov_b32 s16, 0x14761f6e
	s_mov_b32 s17, 0x3f2a01a0
	v_add_f64 v[8:9], v[8:9], s[12:13]
	s_mov_b32 s12, 0x7c89e6b0
	s_mov_b32 s13, 0x3efa0199
	v_fma_f64 v[19:20], v[17:18], v[19:20], s[12:13]
	s_mov_b32 s12, 0xd536f53c
	s_mov_b32 s13, 0x3fba46da
	;; [unrolled: 10-line block ×3, first 2 shown]
	v_fma_f64 v[8:9], v[6:7], v[10:11], -v[8:9]
	v_fma_f64 v[19:20], v[17:18], v[19:20], s[16:17]
	s_mov_b32 s16, 0x55555511
	s_mov_b32 s17, 0x3fc55555
	v_add_f64 v[8:9], v[8:9], s[12:13]
	s_mov_b32 s12, 0x555502a1
	s_mov_b32 s13, 0x3fa55555
	v_fma_f64 v[6:7], v[6:7], v[8:9], -v[10:11]
	v_fma_f64 v[8:9], v[17:18], v[19:20], s[12:13]
	s_mov_b32 s12, 0x724a7ffa
	s_mov_b32 s13, 0x3fd02a63
	v_add_f64 v[6:7], v[6:7], s[12:13]
	v_fma_f64 v[8:9], v[17:18], v[8:9], s[16:17]
	s_mov_b32 s12, 11
	s_mov_b32 s13, 0x3fe00000
	v_add_f64 v[6:7], v[6:7], -v[10:11]
	v_fma_f64 v[8:9], v[17:18], v[8:9], s[12:13]
	v_mul_f64 v[6:7], v[6:7], 0.5
	v_fma_f64 v[8:9], v[17:18], v[8:9], 1.0
	v_mul_f64 v[6:7], |v[2:3]|, v[6:7]
	v_fma_f64 v[10:11], v[17:18], v[8:9], 1.0
                                        ; implicit-def: $vgpr8_vgpr9
	s_and_saveexec_b64 s[12:13], vcc
	s_xor_b64 s[12:13], exec, s[12:13]
	s_cbranch_execz .LBB8_1485
; %bb.1484:
	s_mov_b32 s16, 0
	s_mov_b32 s17, 0x40900000
	v_ldexp_f64 v[8:9], v[10:11], v13
	v_cmp_ngt_f64_e64 vcc, |v[2:3]|, s[16:17]
	v_mov_b32_e32 v10, 0x7ff00000
                                        ; implicit-def: $vgpr13
	v_cndmask_b32_e32 v3, v10, v9, vcc
	v_cndmask_b32_e32 v2, 0, v8, vcc
	v_mul_f64 v[8:9], v[2:3], v[6:7]
                                        ; implicit-def: $vgpr10_vgpr11
                                        ; implicit-def: $vgpr2_vgpr3
                                        ; implicit-def: $vgpr6_vgpr7
.LBB8_1485:
	s_andn2_saveexec_b64 s[12:13], s[12:13]
	s_cbranch_execz .LBB8_1487
; %bb.1486:
	s_mov_b32 s16, 0
	s_mov_b32 s17, 0x40900000
	v_ldexp_f64 v[8:9], -v[10:11], v13
	v_cmp_ngt_f64_e64 vcc, |v[2:3]|, s[16:17]
	v_mov_b32_e32 v10, 0xfff00000
	v_cndmask_b32_e32 v3, v10, v9, vcc
	v_cndmask_b32_e32 v2, 0, v8, vcc
	v_mul_f64 v[8:9], v[2:3], v[6:7]
.LBB8_1487:
	s_or_b64 exec, exec, s[12:13]
                                        ; implicit-def: $vgpr2_vgpr3
.LBB8_1488:
	s_andn2_saveexec_b64 s[12:13], s[0:1]
	s_cbranch_execz .LBB8_1494
; %bb.1489:
	s_mov_b32 s0, 0
	v_and_b32_e32 v7, 0x7fffffff, v3
	v_mov_b32_e32 v6, v2
	s_mov_b32 s1, 0x40400000
	v_div_scale_f64 v[8:9], s[16:17], v[6:7], v[6:7], s[0:1]
	v_div_scale_f64 v[6:7], vcc, s[0:1], v[6:7], s[0:1]
	v_mov_b32_e32 v19, 0xfca7ab0c
	v_mov_b32_e32 v20, 0x3e928af3
	v_rcp_f64_e32 v[10:11], v[8:9]
	v_fma_f64 v[15:16], -v[8:9], v[10:11], 1.0
	v_fma_f64 v[10:11], v[10:11], v[15:16], v[10:11]
	v_fma_f64 v[15:16], -v[8:9], v[10:11], 1.0
	v_fma_f64 v[10:11], v[10:11], v[15:16], v[10:11]
	v_mul_f64 v[15:16], v[6:7], v[10:11]
	v_fma_f64 v[6:7], -v[8:9], v[15:16], v[6:7]
	v_mov_b32_e32 v8, 0xea87b950
	v_mov_b32_e32 v9, 0x3c545b8a
	v_div_fmas_f64 v[6:7], v[6:7], v[10:11], v[15:16]
	v_cmp_ngt_f64_e32 vcc, 0, v[2:3]
	v_div_fixup_f64 v[6:7], v[6:7], |v[2:3]|, s[0:1]
	s_mov_b32 s1, 0x3c61556d
	s_mov_b32 s0, 0xb352e8e6
	v_add_f64 v[6:7], v[6:7], -2.0
	v_fma_f64 v[8:9], v[6:7], s[0:1], v[8:9]
	s_mov_b32 s1, 0xbc61556d
	v_fma_f64 v[10:11], v[6:7], v[8:9], s[0:1]
	s_mov_b32 s0, 0xb2532277
	s_mov_b32 s1, 0xbc8acea3
	v_add_f64 v[10:11], v[10:11], s[0:1]
	s_mov_b32 s0, 0x9c773320
	s_mov_b32 s1, 0xbc82806c
	v_fma_f64 v[8:9], v[6:7], v[10:11], -v[8:9]
	v_add_f64 v[8:9], v[8:9], s[0:1]
	s_mov_b32 s0, 0xfceb588a
	s_mov_b32 s1, 0x3cb55915
	v_fma_f64 v[10:11], v[6:7], v[8:9], -v[10:11]
	;; [unrolled: 4-line block ×14, first 2 shown]
	v_add_f64 v[10:11], v[10:11], s[0:1]
	s_mov_b32 s0, 0x652b82fe
	s_mov_b32 s1, 0x3ff71547
	v_mul_f64 v[15:16], |v[2:3]|, s[0:1]
	s_mov_b32 s0, 0x5423dd80
	s_mov_b32 s1, 0xbe0334ca
	v_fma_f64 v[8:9], v[6:7], v[10:11], -v[8:9]
	v_rndne_f64_e32 v[15:16], v[15:16]
	v_add_f64 v[8:9], v[8:9], s[0:1]
	s_mov_b32 s0, 0xfefa39ef
	s_mov_b32 s1, 0xbfe62e42
	v_fma_f64 v[17:18], v[15:16], s[0:1], |v[2:3]|
	s_mov_b32 s0, 0x9ad53528
	s_mov_b32 s1, 0xbe30790b
	v_cvt_i32_f64_e32 v13, v[15:16]
	v_fma_f64 v[10:11], v[6:7], v[8:9], -v[10:11]
	v_add_f64 v[10:11], v[10:11], s[0:1]
	s_mov_b32 s0, 0x3b39803f
	s_mov_b32 s1, 0xbc7abc9e
	v_fma_f64 v[17:18], v[15:16], s[0:1], v[17:18]
	s_mov_b32 s0, 0x6a5dcb37
	s_mov_b32 s1, 0x3e5ade15
	v_fma_f64 v[8:9], v[6:7], v[10:11], -v[8:9]
	v_fma_f64 v[19:20], v[17:18], s[0:1], v[19:20]
	s_mov_b32 s0, 0x94bb46c1
	s_mov_b32 s1, 0xbe5c4153
	v_add_f64 v[8:9], v[8:9], s[0:1]
	s_mov_b32 s0, 0x623fde64
	s_mov_b32 s1, 0x3ec71dee
	v_fma_f64 v[19:20], v[17:18], v[19:20], s[0:1]
	s_mov_b32 s0, 0x7c89e6b0
	s_mov_b32 s1, 0x3efa0199
	v_fma_f64 v[10:11], v[6:7], v[8:9], -v[10:11]
	v_fma_f64 v[19:20], v[17:18], v[19:20], s[0:1]
	s_mov_b32 s0, 0x2e9e5443
	s_mov_b32 s1, 0xbe90dbfd
	;; [unrolled: 10-line block ×5, first 2 shown]
	v_add_f64 v[8:9], v[8:9], s[0:1]
	s_mov_b32 s0, 0xb55b1514
	s_mov_b32 s1, 0x3fe8ea18
	v_fma_f64 v[19:20], v[17:18], v[19:20], 1.0
	v_fma_f64 v[6:7], v[6:7], v[8:9], -v[10:11]
	v_fma_f64 v[8:9], v[17:18], v[19:20], 1.0
	v_add_f64 v[6:7], v[6:7], s[0:1]
	s_mov_b32 s0, 0
	s_mov_b32 s1, 0x40900000
	v_ldexp_f64 v[8:9], v[8:9], v13
	v_cmp_ngt_f64_e64 s[0:1], |v[2:3]|, s[0:1]
	v_mov_b32_e32 v13, 0x7ff00000
	v_add_f64 v[10:11], v[6:7], -v[10:11]
	v_cndmask_b32_e64 v7, v13, v9, s[0:1]
	v_cndmask_b32_e64 v6, 0, v8, s[0:1]
                                        ; implicit-def: $vgpr8_vgpr9
	s_and_saveexec_b64 s[0:1], vcc
	s_xor_b64 s[0:1], exec, s[0:1]
	s_cbranch_execz .LBB8_1491
; %bb.1490:
	s_mov_b32 s16, 0
	s_brev_b32 s17, 8
	v_cmp_lt_f64_e64 vcc, |v[2:3]|, s[16:17]
	v_mov_b32_e32 v8, 0x100
	v_mul_f64 v[10:11], v[10:11], 0.5
	v_mov_b32_e32 v13, 0xffffff80
	v_cndmask_b32_e32 v8, 0, v8, vcc
	v_ldexp_f64 v[2:3], |v[2:3]|, v8
	v_cndmask_b32_e32 v13, 0, v13, vcc
	v_mul_f64 v[6:7], v[6:7], v[10:11]
	v_rsq_f64_e32 v[8:9], v[2:3]
	v_mul_f64 v[15:16], v[2:3], v[8:9]
	v_mul_f64 v[8:9], v[8:9], 0.5
	v_fma_f64 v[17:18], -v[8:9], v[15:16], 0.5
	v_fma_f64 v[15:16], v[15:16], v[17:18], v[15:16]
	v_fma_f64 v[8:9], v[8:9], v[17:18], v[8:9]
	v_fma_f64 v[17:18], -v[15:16], v[15:16], v[2:3]
	v_fma_f64 v[15:16], v[17:18], v[8:9], v[15:16]
	v_fma_f64 v[17:18], -v[15:16], v[15:16], v[2:3]
	v_fma_f64 v[8:9], v[17:18], v[8:9], v[15:16]
	v_mov_b32_e32 v15, 0x260
	v_cmp_class_f64_e32 vcc, v[2:3], v15
	v_ldexp_f64 v[8:9], v[8:9], v13
	v_cndmask_b32_e32 v3, v9, v3, vcc
	v_cndmask_b32_e32 v2, v8, v2, vcc
	v_div_scale_f64 v[8:9], s[16:17], v[2:3], v[2:3], v[6:7]
	v_div_scale_f64 v[17:18], vcc, v[6:7], v[2:3], v[6:7]
	v_rcp_f64_e32 v[10:11], v[8:9]
	v_fma_f64 v[15:16], -v[8:9], v[10:11], 1.0
	v_fma_f64 v[10:11], v[10:11], v[15:16], v[10:11]
	v_fma_f64 v[15:16], -v[8:9], v[10:11], 1.0
	v_fma_f64 v[10:11], v[10:11], v[15:16], v[10:11]
	v_mul_f64 v[15:16], v[17:18], v[10:11]
	v_fma_f64 v[8:9], -v[8:9], v[15:16], v[17:18]
	v_div_fmas_f64 v[8:9], v[8:9], v[10:11], v[15:16]
                                        ; implicit-def: $vgpr10_vgpr11
	v_div_fixup_f64 v[8:9], v[8:9], v[2:3], v[6:7]
                                        ; implicit-def: $vgpr2_vgpr3
                                        ; implicit-def: $vgpr6_vgpr7
.LBB8_1491:
	s_andn2_saveexec_b64 s[0:1], s[0:1]
	s_cbranch_execz .LBB8_1493
; %bb.1492:
	s_mov_b32 s16, 0
	s_brev_b32 s17, 8
	v_cmp_lt_f64_e64 vcc, |v[2:3]|, s[16:17]
	v_mov_b32_e32 v8, 0x100
	v_mul_f64 v[10:11], v[10:11], -0.5
	v_mov_b32_e32 v13, 0xffffff80
	v_cndmask_b32_e32 v8, 0, v8, vcc
	v_ldexp_f64 v[2:3], |v[2:3]|, v8
	v_cndmask_b32_e32 v13, 0, v13, vcc
	v_mul_f64 v[6:7], v[6:7], v[10:11]
	v_rsq_f64_e32 v[8:9], v[2:3]
	v_mul_f64 v[15:16], v[2:3], v[8:9]
	v_mul_f64 v[8:9], v[8:9], 0.5
	v_fma_f64 v[17:18], -v[8:9], v[15:16], 0.5
	v_fma_f64 v[15:16], v[15:16], v[17:18], v[15:16]
	v_fma_f64 v[8:9], v[8:9], v[17:18], v[8:9]
	v_fma_f64 v[17:18], -v[15:16], v[15:16], v[2:3]
	v_fma_f64 v[15:16], v[17:18], v[8:9], v[15:16]
	v_fma_f64 v[17:18], -v[15:16], v[15:16], v[2:3]
	v_fma_f64 v[8:9], v[17:18], v[8:9], v[15:16]
	v_mov_b32_e32 v15, 0x260
	v_cmp_class_f64_e32 vcc, v[2:3], v15
	v_ldexp_f64 v[8:9], v[8:9], v13
	v_cndmask_b32_e32 v3, v9, v3, vcc
	v_cndmask_b32_e32 v2, v8, v2, vcc
	v_div_scale_f64 v[8:9], s[16:17], v[2:3], v[2:3], v[6:7]
	v_div_scale_f64 v[17:18], vcc, v[6:7], v[2:3], v[6:7]
	v_rcp_f64_e32 v[10:11], v[8:9]
	v_fma_f64 v[15:16], -v[8:9], v[10:11], 1.0
	v_fma_f64 v[10:11], v[10:11], v[15:16], v[10:11]
	v_fma_f64 v[15:16], -v[8:9], v[10:11], 1.0
	v_fma_f64 v[10:11], v[10:11], v[15:16], v[10:11]
	v_mul_f64 v[15:16], v[17:18], v[10:11]
	v_fma_f64 v[8:9], -v[8:9], v[15:16], v[17:18]
	v_div_fmas_f64 v[8:9], v[8:9], v[10:11], v[15:16]
	v_div_fixup_f64 v[8:9], v[8:9], v[2:3], v[6:7]
.LBB8_1493:
	s_or_b64 exec, exec, s[0:1]
.LBB8_1494:
	s_or_b64 exec, exec, s[12:13]
	v_add_u32_e32 v2, s3, v12
	v_ashrrev_i32_e32 v3, 31, v2
	v_mov_b32_e32 v7, s11
	v_add_co_u32_e32 v6, vcc, s10, v2
	s_cmp_lt_i32 s22, 11
	v_addc_co_u32_e32 v7, vcc, v7, v3, vcc
	s_cbranch_scc1 .LBB8_1501
; %bb.1495:
	s_cmp_gt_i32 s22, 25
	s_mov_b64 s[10:11], 0
	s_cbranch_scc0 .LBB8_1502
; %bb.1496:
	s_cmp_gt_i32 s22, 28
	s_cbranch_scc0 .LBB8_1503
; %bb.1497:
	s_cmp_gt_i32 s22, 43
	;; [unrolled: 3-line block ×3, first 2 shown]
	s_cbranch_scc0 .LBB8_1506
; %bb.1499:
	s_cmp_eq_u32 s22, 46
	s_mov_b64 s[16:17], 0
	s_cbranch_scc0 .LBB8_1507
; %bb.1500:
	global_load_dword v2, v[6:7], off
	s_mov_b64 s[0:1], 0
	s_mov_b64 s[12:13], -1
	s_waitcnt vmcnt(0)
	v_lshlrev_b32_e32 v2, 16, v2
	v_cvt_f64_f32_e32 v[2:3], v2
	s_branch .LBB8_1508
.LBB8_1501:
	s_mov_b64 s[0:1], -1
	s_mov_b64 s[12:13], 0
                                        ; implicit-def: $vgpr2_vgpr3
	s_branch .LBB8_1574
.LBB8_1502:
	s_mov_b64 s[16:17], -1
	s_mov_b64 s[12:13], 0
	s_mov_b64 s[0:1], 0
                                        ; implicit-def: $vgpr2_vgpr3
	s_branch .LBB8_1539
.LBB8_1503:
	s_mov_b64 s[16:17], -1
	s_mov_b64 s[12:13], 0
	s_mov_b64 s[0:1], 0
                                        ; implicit-def: $vgpr2_vgpr3
	s_branch .LBB8_1518
.LBB8_1504:
	s_mov_b64 s[16:17], -1
	s_mov_b64 s[12:13], 0
	s_mov_b64 s[0:1], 0
                                        ; implicit-def: $vgpr2_vgpr3
	s_branch .LBB8_1513
.LBB8_1505:
	s_trap 2
	s_or_b64 s[14:15], s[14:15], exec
	s_cbranch_execz .LBB8_1432
	s_branch .LBB8_1433
.LBB8_1506:
	s_mov_b64 s[16:17], -1
	s_mov_b64 s[12:13], 0
	s_mov_b64 s[0:1], 0
                                        ; implicit-def: $vgpr2_vgpr3
	s_branch .LBB8_1508
.LBB8_1507:
	s_mov_b64 s[0:1], -1
                                        ; implicit-def: $vgpr2_vgpr3
	s_mov_b64 s[12:13], 0
.LBB8_1508:
	s_and_b64 vcc, exec, s[16:17]
	s_cbranch_vccz .LBB8_1512
; %bb.1509:
	s_cmp_eq_u32 s22, 44
	s_cbranch_scc0 .LBB8_1511
; %bb.1510:
	global_load_ubyte v10, v[6:7], off
	s_movk_i32 s3, 0xff
	v_bfrev_b32_e32 v11, 4
	v_mov_b32_e32 v12, 0x7ff80000
	v_bfrev_b32_e32 v13, 28
	s_mov_b64 s[0:1], 0
	s_mov_b64 s[12:13], -1
	s_waitcnt vmcnt(0)
	v_lshlrev_b32_e32 v2, 23, v10
	v_cvt_f64_f32_e32 v[2:3], v2
	v_cmp_ne_u32_e32 vcc, s3, v10
	v_cndmask_b32_e32 v2, v11, v2, vcc
	v_cndmask_b32_e32 v3, v12, v3, vcc
	v_cmp_ne_u32_e32 vcc, 0, v10
	v_cndmask_b32_e32 v3, v13, v3, vcc
	v_cndmask_b32_e32 v2, 0, v2, vcc
	s_branch .LBB8_1512
.LBB8_1511:
	s_mov_b64 s[0:1], -1
                                        ; implicit-def: $vgpr2_vgpr3
.LBB8_1512:
	s_mov_b64 s[16:17], 0
.LBB8_1513:
	s_and_b64 vcc, exec, s[16:17]
	s_cbranch_vccz .LBB8_1517
; %bb.1514:
	s_cmp_eq_u32 s22, 29
	s_cbranch_scc0 .LBB8_1516
; %bb.1515:
	global_load_dwordx2 v[2:3], v[6:7], off
	s_mov_b64 s[0:1], 0
	s_mov_b64 s[12:13], -1
	s_mov_b64 s[16:17], 0
	s_waitcnt vmcnt(0)
	v_cvt_f64_u32_e32 v[10:11], v3
	v_cvt_f64_u32_e32 v[2:3], v2
	v_ldexp_f64 v[10:11], v[10:11], 32
	v_add_f64 v[2:3], v[10:11], v[2:3]
	s_branch .LBB8_1518
.LBB8_1516:
	s_mov_b64 s[0:1], -1
                                        ; implicit-def: $vgpr2_vgpr3
.LBB8_1517:
	s_mov_b64 s[16:17], 0
.LBB8_1518:
	s_and_b64 vcc, exec, s[16:17]
	s_cbranch_vccz .LBB8_1538
; %bb.1519:
	s_cmp_lt_i32 s22, 27
	s_cbranch_scc1 .LBB8_1522
; %bb.1520:
	s_cmp_gt_i32 s22, 27
	s_cbranch_scc0 .LBB8_1523
; %bb.1521:
	global_load_dword v2, v[6:7], off
	s_mov_b64 s[12:13], 0
	s_waitcnt vmcnt(0)
	v_cvt_f64_u32_e32 v[2:3], v2
	s_branch .LBB8_1524
.LBB8_1522:
	s_mov_b64 s[12:13], -1
                                        ; implicit-def: $vgpr2_vgpr3
	s_branch .LBB8_1527
.LBB8_1523:
	s_mov_b64 s[12:13], -1
                                        ; implicit-def: $vgpr2_vgpr3
.LBB8_1524:
	s_andn2_b64 vcc, exec, s[12:13]
	s_cbranch_vccnz .LBB8_1526
; %bb.1525:
	global_load_ushort v2, v[6:7], off
	s_waitcnt vmcnt(0)
	v_cvt_f64_u32_e32 v[2:3], v2
.LBB8_1526:
	s_mov_b64 s[12:13], 0
.LBB8_1527:
	s_andn2_b64 vcc, exec, s[12:13]
	s_cbranch_vccnz .LBB8_1537
; %bb.1528:
	global_load_ubyte v10, v[6:7], off
	s_movk_i32 s3, 0x7f
	s_mov_b64 s[12:13], 0
	s_waitcnt vmcnt(0)
	v_cmp_lt_i16_e32 vcc, s3, v10
	s_and_saveexec_b64 s[16:17], vcc
	s_xor_b64 s[16:17], exec, s[16:17]
	s_cbranch_execz .LBB8_1532
; %bb.1529:
	s_movk_i32 s3, 0x80
	v_cmp_eq_u16_e32 vcc, s3, v10
	s_mov_b64 s[12:13], -1
	s_and_saveexec_b64 s[18:19], vcc
; %bb.1530:
	s_xor_b64 s[12:13], exec, -1
; %bb.1531:
	s_or_b64 exec, exec, s[18:19]
	s_and_b64 s[12:13], s[12:13], exec
.LBB8_1532:
	s_or_saveexec_b64 s[16:17], s[16:17]
	v_bfrev_b32_e32 v2, 4
	v_mov_b32_e32 v3, 0x7ff80000
	s_xor_b64 exec, exec, s[16:17]
; %bb.1533:
	v_cmp_ne_u16_e32 vcc, 0, v10
	v_mov_b32_e32 v2, 0
	s_andn2_b64 s[12:13], s[12:13], exec
	s_and_b64 s[18:19], vcc, exec
	v_mov_b32_e32 v3, 0
	s_or_b64 s[12:13], s[12:13], s[18:19]
; %bb.1534:
	s_or_b64 exec, exec, s[16:17]
	s_and_saveexec_b64 s[16:17], s[12:13]
	s_cbranch_execz .LBB8_1536
; %bb.1535:
	v_and_b32_e32 v3, 0xffff, v10
	v_lshlrev_b32_e32 v2, 24, v10
	v_and_b32_e32 v10, 7, v3
	v_ffbh_u32_e32 v12, v10
	v_min_u32_e32 v12, 32, v12
	v_subrev_u32_e32 v13, 28, v12
	v_bfe_u32 v11, v3, 3, 4
	v_lshlrev_b32_e32 v3, v13, v3
	v_sub_u32_e32 v12, 29, v12
	v_and_b32_e32 v3, 7, v3
	v_cmp_eq_u32_e32 vcc, 0, v11
	v_cndmask_b32_e32 v11, v11, v12, vcc
	v_cndmask_b32_e32 v3, v10, v3, vcc
	v_mov_b32_e32 v10, 0x3b800000
	v_lshlrev_b32_e32 v3, 20, v3
	v_and_b32_e32 v2, 0x80000000, v2
	v_lshl_add_u32 v10, v11, 23, v10
	v_or3_b32 v2, v2, v10, v3
	v_cvt_f64_f32_e32 v[2:3], v2
.LBB8_1536:
	s_or_b64 exec, exec, s[16:17]
.LBB8_1537:
	s_mov_b64 s[12:13], -1
.LBB8_1538:
	s_mov_b64 s[16:17], 0
.LBB8_1539:
	s_and_b64 vcc, exec, s[16:17]
	s_cbranch_vccz .LBB8_1570
; %bb.1540:
	s_cmp_gt_i32 s22, 22
	s_cbranch_scc0 .LBB8_1552
; %bb.1541:
	s_cmp_lt_i32 s22, 24
	s_cbranch_scc1 .LBB8_1553
; %bb.1542:
	s_cmp_gt_i32 s22, 24
	s_cbranch_scc0 .LBB8_1554
; %bb.1543:
	global_load_ubyte v10, v[6:7], off
	s_movk_i32 s3, 0x7f
	s_waitcnt vmcnt(0)
	v_cmp_lt_i16_e32 vcc, s3, v10
	s_and_saveexec_b64 s[12:13], vcc
	s_xor_b64 s[12:13], exec, s[12:13]
	s_cbranch_execz .LBB8_1547
; %bb.1544:
	s_movk_i32 s3, 0x80
	v_cmp_eq_u16_e32 vcc, s3, v10
	s_mov_b64 s[10:11], -1
	s_and_saveexec_b64 s[16:17], vcc
; %bb.1545:
	s_xor_b64 s[10:11], exec, -1
; %bb.1546:
	s_or_b64 exec, exec, s[16:17]
	s_and_b64 s[10:11], s[10:11], exec
.LBB8_1547:
	s_or_saveexec_b64 s[12:13], s[12:13]
	v_bfrev_b32_e32 v2, 4
	v_mov_b32_e32 v3, 0x7ff80000
	s_xor_b64 exec, exec, s[12:13]
; %bb.1548:
	v_cmp_ne_u16_e32 vcc, 0, v10
	v_mov_b32_e32 v2, 0
	s_andn2_b64 s[10:11], s[10:11], exec
	s_and_b64 s[16:17], vcc, exec
	v_mov_b32_e32 v3, 0
	s_or_b64 s[10:11], s[10:11], s[16:17]
; %bb.1549:
	s_or_b64 exec, exec, s[12:13]
	s_and_saveexec_b64 s[12:13], s[10:11]
	s_cbranch_execz .LBB8_1551
; %bb.1550:
	v_and_b32_e32 v3, 0xffff, v10
	v_lshlrev_b32_e32 v2, 24, v10
	v_and_b32_e32 v10, 3, v3
	v_ffbh_u32_e32 v12, v10
	v_min_u32_e32 v12, 32, v12
	v_subrev_u32_e32 v13, 29, v12
	v_bfe_u32 v11, v3, 2, 5
	v_lshlrev_b32_e32 v3, v13, v3
	v_sub_u32_e32 v12, 30, v12
	v_and_b32_e32 v3, 3, v3
	v_cmp_eq_u32_e32 vcc, 0, v11
	v_cndmask_b32_e32 v11, v11, v12, vcc
	v_cndmask_b32_e32 v3, v10, v3, vcc
	v_mov_b32_e32 v10, 0x37800000
	v_lshlrev_b32_e32 v3, 21, v3
	v_and_b32_e32 v2, 0x80000000, v2
	v_lshl_add_u32 v10, v11, 23, v10
	v_or3_b32 v2, v2, v10, v3
	v_cvt_f64_f32_e32 v[2:3], v2
.LBB8_1551:
	s_or_b64 exec, exec, s[12:13]
	s_mov_b64 s[10:11], 0
	s_branch .LBB8_1555
.LBB8_1552:
	s_mov_b64 s[10:11], -1
                                        ; implicit-def: $vgpr2_vgpr3
	s_branch .LBB8_1561
.LBB8_1553:
	s_mov_b64 s[10:11], -1
                                        ; implicit-def: $vgpr2_vgpr3
	s_branch .LBB8_1558
.LBB8_1554:
	s_mov_b64 s[10:11], -1
                                        ; implicit-def: $vgpr2_vgpr3
.LBB8_1555:
	s_and_b64 vcc, exec, s[10:11]
	s_cbranch_vccz .LBB8_1557
; %bb.1556:
	global_load_ubyte v2, v[6:7], off
	s_mov_b32 s3, 0x7f800000
	s_waitcnt vmcnt(0)
	v_lshlrev_b32_e32 v2, 24, v2
	v_and_b32_e32 v3, 0x7f000000, v2
	v_ffbh_u32_e32 v10, v3
	v_min_u32_e32 v10, 32, v10
	v_sub_u32_e64 v10, v10, 4 clamp
	v_lshlrev_b32_e32 v12, v10, v3
	v_lshlrev_b32_e32 v10, 23, v10
	v_lshrrev_b32_e32 v12, 4, v12
	v_add_u32_e32 v11, 0x1000000, v3
	v_sub_u32_e32 v10, v12, v10
	v_ashrrev_i32_e32 v11, 8, v11
	v_add_u32_e32 v10, 0x3c000000, v10
	v_and_or_b32 v10, v11, s3, v10
	v_cmp_ne_u32_e32 vcc, 0, v3
	v_cndmask_b32_e32 v3, 0, v10, vcc
	s_brev_b32 s3, 1
	v_and_or_b32 v2, v2, s3, v3
	v_cvt_f64_f32_e32 v[2:3], v2
.LBB8_1557:
	s_mov_b64 s[10:11], 0
.LBB8_1558:
	s_andn2_b64 vcc, exec, s[10:11]
	s_cbranch_vccnz .LBB8_1560
; %bb.1559:
	global_load_ubyte v2, v[6:7], off
	s_movk_i32 s3, 0x7f00
	s_brev_b32 s10, 16
	s_waitcnt vmcnt(0)
	v_lshlrev_b16_e32 v3, 8, v2
	v_lshlrev_b32_e32 v2, 25, v2
	v_lshrrev_b32_e32 v10, 4, v2
	v_and_or_b32 v11, v3, s3, 0.5
	v_or_b32_e32 v10, 0x70000000, v10
	v_add_f32_e32 v11, -0.5, v11
	v_mul_f32_e32 v10, 0x7800000, v10
	v_cmp_gt_u32_e32 vcc, s10, v2
	v_bfe_i32 v3, v3, 0, 16
	v_cndmask_b32_e32 v2, v10, v11, vcc
	s_brev_b32 s3, 1
	v_and_or_b32 v2, v3, s3, v2
	v_cvt_f64_f32_e32 v[2:3], v2
.LBB8_1560:
	s_mov_b64 s[10:11], 0
	s_mov_b64 s[12:13], -1
.LBB8_1561:
	s_andn2_b64 vcc, exec, s[10:11]
	s_mov_b64 s[10:11], 0
	s_cbranch_vccnz .LBB8_1570
; %bb.1562:
	s_cmp_gt_i32 s22, 14
	s_cbranch_scc0 .LBB8_1565
; %bb.1563:
	s_cmp_eq_u32 s22, 15
	s_cbranch_scc0 .LBB8_1566
; %bb.1564:
	global_load_ushort v2, v[6:7], off
	s_mov_b64 s[0:1], 0
	s_mov_b64 s[12:13], -1
	s_waitcnt vmcnt(0)
	v_lshlrev_b32_e32 v2, 16, v2
	v_cvt_f64_f32_e32 v[2:3], v2
	s_branch .LBB8_1567
.LBB8_1565:
	s_mov_b64 s[16:17], -1
                                        ; implicit-def: $vgpr2_vgpr3
	s_branch .LBB8_1568
.LBB8_1566:
	s_mov_b64 s[0:1], -1
                                        ; implicit-def: $vgpr2_vgpr3
.LBB8_1567:
	s_mov_b64 s[16:17], 0
.LBB8_1568:
	s_and_b64 vcc, exec, s[16:17]
	s_cbranch_vccz .LBB8_1570
; %bb.1569:
	s_cmp_lg_u32 s22, 11
	s_mov_b64 s[10:11], -1
	s_cselect_b64 s[0:1], -1, 0
.LBB8_1570:
	s_and_b64 vcc, exec, s[0:1]
	s_cbranch_vccnz .LBB8_2117
; %bb.1571:
	s_andn2_b64 vcc, exec, s[10:11]
	s_cbranch_vccnz .LBB8_1573
.LBB8_1572:
	global_load_ubyte v3, v[6:7], off
	v_mov_b32_e32 v10, 0x3ff00000
	v_mov_b32_e32 v2, 0
	s_mov_b64 s[12:13], -1
	s_waitcnt vmcnt(0)
	v_cmp_ne_u16_e32 vcc, 0, v3
	v_cndmask_b32_e32 v3, 0, v10, vcc
.LBB8_1573:
	s_mov_b64 s[0:1], 0
.LBB8_1574:
	s_and_b64 vcc, exec, s[0:1]
	s_cbranch_vccz .LBB8_1623
; %bb.1575:
	s_cmp_lt_i32 s22, 5
	s_cbranch_scc1 .LBB8_1580
; %bb.1576:
	s_cmp_lt_i32 s22, 8
	s_cbranch_scc1 .LBB8_1581
	;; [unrolled: 3-line block ×3, first 2 shown]
; %bb.1578:
	s_cmp_gt_i32 s22, 9
	s_cbranch_scc0 .LBB8_1583
; %bb.1579:
	global_load_dwordx2 v[2:3], v[6:7], off
	s_mov_b64 s[0:1], 0
	s_branch .LBB8_1584
.LBB8_1580:
	s_mov_b64 s[0:1], -1
                                        ; implicit-def: $vgpr2_vgpr3
	s_branch .LBB8_1602
.LBB8_1581:
	s_mov_b64 s[0:1], -1
                                        ; implicit-def: $vgpr2_vgpr3
	s_branch .LBB8_1590
.LBB8_1582:
	s_mov_b64 s[0:1], -1
                                        ; implicit-def: $vgpr2_vgpr3
	s_branch .LBB8_1587
.LBB8_1583:
	s_mov_b64 s[0:1], -1
                                        ; implicit-def: $vgpr2_vgpr3
.LBB8_1584:
	s_andn2_b64 vcc, exec, s[0:1]
	s_cbranch_vccnz .LBB8_1586
; %bb.1585:
	global_load_dword v2, v[6:7], off
	s_waitcnt vmcnt(0)
	v_cvt_f64_f32_e32 v[2:3], v2
.LBB8_1586:
	s_mov_b64 s[0:1], 0
.LBB8_1587:
	s_andn2_b64 vcc, exec, s[0:1]
	s_cbranch_vccnz .LBB8_1589
; %bb.1588:
	global_load_dword v2, v[6:7], off
	s_waitcnt vmcnt(0)
	v_cvt_f32_f16_e32 v2, v2
	v_cvt_f64_f32_e32 v[2:3], v2
.LBB8_1589:
	s_mov_b64 s[0:1], 0
.LBB8_1590:
	s_andn2_b64 vcc, exec, s[0:1]
	s_cbranch_vccnz .LBB8_1601
; %bb.1591:
	s_cmp_lt_i32 s22, 6
	s_cbranch_scc1 .LBB8_1594
; %bb.1592:
	s_cmp_gt_i32 s22, 6
	s_cbranch_scc0 .LBB8_1595
; %bb.1593:
	global_load_dwordx2 v[2:3], v[6:7], off
	s_mov_b64 s[0:1], 0
	s_branch .LBB8_1596
.LBB8_1594:
	s_mov_b64 s[0:1], -1
                                        ; implicit-def: $vgpr2_vgpr3
	s_branch .LBB8_1599
.LBB8_1595:
	s_mov_b64 s[0:1], -1
                                        ; implicit-def: $vgpr2_vgpr3
.LBB8_1596:
	s_andn2_b64 vcc, exec, s[0:1]
	s_cbranch_vccnz .LBB8_1598
; %bb.1597:
	global_load_dword v2, v[6:7], off
	s_waitcnt vmcnt(0)
	v_cvt_f64_f32_e32 v[2:3], v2
.LBB8_1598:
	s_mov_b64 s[0:1], 0
.LBB8_1599:
	s_andn2_b64 vcc, exec, s[0:1]
	s_cbranch_vccnz .LBB8_1601
; %bb.1600:
	global_load_ushort v2, v[6:7], off
	s_waitcnt vmcnt(0)
	v_cvt_f32_f16_e32 v2, v2
	v_cvt_f64_f32_e32 v[2:3], v2
.LBB8_1601:
	s_mov_b64 s[0:1], 0
.LBB8_1602:
	s_andn2_b64 vcc, exec, s[0:1]
	s_cbranch_vccnz .LBB8_1622
; %bb.1603:
	s_cmp_lt_i32 s22, 2
	s_cbranch_scc1 .LBB8_1607
; %bb.1604:
	s_cmp_lt_i32 s22, 3
	s_cbranch_scc1 .LBB8_1608
; %bb.1605:
	s_cmp_gt_i32 s22, 3
	s_cbranch_scc0 .LBB8_1609
; %bb.1606:
	global_load_dwordx2 v[2:3], v[6:7], off
	s_mov_b64 s[0:1], 0
	s_waitcnt vmcnt(0)
	v_cvt_f64_i32_e32 v[10:11], v3
	v_cvt_f64_u32_e32 v[2:3], v2
	v_ldexp_f64 v[10:11], v[10:11], 32
	v_add_f64 v[2:3], v[10:11], v[2:3]
	s_branch .LBB8_1610
.LBB8_1607:
	s_mov_b64 s[0:1], -1
                                        ; implicit-def: $vgpr2_vgpr3
	s_branch .LBB8_1616
.LBB8_1608:
	s_mov_b64 s[0:1], -1
                                        ; implicit-def: $vgpr2_vgpr3
	s_branch .LBB8_1613
.LBB8_1609:
	s_mov_b64 s[0:1], -1
                                        ; implicit-def: $vgpr2_vgpr3
.LBB8_1610:
	s_andn2_b64 vcc, exec, s[0:1]
	s_cbranch_vccnz .LBB8_1612
; %bb.1611:
	global_load_dword v2, v[6:7], off
	s_waitcnt vmcnt(0)
	v_cvt_f64_i32_e32 v[2:3], v2
.LBB8_1612:
	s_mov_b64 s[0:1], 0
.LBB8_1613:
	s_andn2_b64 vcc, exec, s[0:1]
	s_cbranch_vccnz .LBB8_1615
; %bb.1614:
	global_load_sshort v2, v[6:7], off
	s_waitcnt vmcnt(0)
	v_cvt_f64_i32_e32 v[2:3], v2
.LBB8_1615:
	s_mov_b64 s[0:1], 0
.LBB8_1616:
	s_andn2_b64 vcc, exec, s[0:1]
	s_cbranch_vccnz .LBB8_1622
; %bb.1617:
	s_cmp_gt_i32 s22, 0
	s_cbranch_scc0 .LBB8_1619
; %bb.1618:
	global_load_sbyte v2, v[6:7], off
	s_mov_b64 s[0:1], 0
	s_waitcnt vmcnt(0)
	v_cvt_f64_i32_e32 v[2:3], v2
	s_branch .LBB8_1620
.LBB8_1619:
	s_mov_b64 s[0:1], -1
                                        ; implicit-def: $vgpr2_vgpr3
.LBB8_1620:
	s_andn2_b64 vcc, exec, s[0:1]
	s_cbranch_vccnz .LBB8_1622
; %bb.1621:
	global_load_ubyte v2, v[6:7], off
	s_waitcnt vmcnt(0)
	v_cvt_f64_u32_e32 v[2:3], v2
.LBB8_1622:
	s_mov_b64 s[12:13], -1
.LBB8_1623:
	s_andn2_b64 vcc, exec, s[12:13]
	s_cbranch_vccnz .LBB8_1714
; %bb.1624:
	s_mov_b32 s0, 0
	s_mov_b32 s1, 0x40200000
	s_waitcnt vmcnt(0)
	v_cmp_le_f64_e64 s[0:1], |v[2:3]|, s[0:1]
                                        ; implicit-def: $vgpr12_vgpr13
	s_and_saveexec_b64 s[10:11], s[0:1]
	s_xor_b64 s[0:1], exec, s[10:11]
	s_cbranch_execz .LBB8_1630
; %bb.1625:
	v_fma_f64 v[6:7], |v[2:3]|, 0.5, -2.0
	v_mov_b32_e32 v10, 0xc38a0576
	v_mov_b32_e32 v11, 0xbc7857d0
	s_mov_b32 s11, 0x3c499f2a
	s_mov_b32 s10, 0xc3c4014
	;; [unrolled: 1-line block ×4, first 2 shown]
	v_mov_b32_e32 v19, 0xfca7ab0c
	v_fma_f64 v[10:11], v[6:7], s[10:11], v[10:11]
	s_mov_b32 s11, 0xbc499f2a
	v_mov_b32_e32 v20, 0x3e928af3
	v_cmp_ngt_f64_e32 vcc, 0, v[2:3]
	v_fma_f64 v[12:13], v[6:7], v[10:11], s[10:11]
	s_mov_b32 s10, 0xe593bfac
	s_mov_b32 s11, 0x3ca663e3
	v_add_f64 v[12:13], v[12:13], s[10:11]
	s_mov_b32 s10, 0x7e0d1573
	s_mov_b32 s11, 0xbcd3eaaa
	v_fma_f64 v[10:11], v[6:7], v[12:13], -v[10:11]
	v_add_f64 v[10:11], v[10:11], s[10:11]
	s_mov_b32 s10, 0x615290c
	s_mov_b32 s11, 0x3d011d7f
	v_fma_f64 v[12:13], v[6:7], v[10:11], -v[12:13]
	;; [unrolled: 4-line block ×20, first 2 shown]
	v_add_f64 v[12:13], v[12:13], s[10:11]
	s_mov_b32 s10, 0x652b82fe
	s_mov_b32 s11, 0x3ff71547
	v_mul_f64 v[15:16], |v[2:3]|, s[10:11]
	s_mov_b32 s10, 0x7913a26a
	s_mov_b32 s11, 0xbf85a29f
	v_fma_f64 v[10:11], v[6:7], v[12:13], -v[10:11]
	v_rndne_f64_e32 v[15:16], v[15:16]
	v_add_f64 v[10:11], v[10:11], s[10:11]
	s_mov_b32 s10, 0xfefa39ef
	s_mov_b32 s11, 0xbfe62e42
	v_fma_f64 v[17:18], v[15:16], s[10:11], |v[2:3]|
	s_mov_b32 s10, 0xe7bb2349
	s_mov_b32 s11, 0x3f9951e3
	v_fma_f64 v[12:13], v[6:7], v[10:11], -v[12:13]
	v_fma_f64 v[17:18], v[15:16], s[12:13], v[17:18]
	s_mov_b32 s12, 0x623fde64
	s_mov_b32 s13, 0x3ec71dee
	v_cvt_i32_f64_e32 v15, v[15:16]
	v_add_f64 v[12:13], v[12:13], s[10:11]
	s_mov_b32 s10, 0x6a5dcb37
	s_mov_b32 s11, 0x3e5ade15
	v_fma_f64 v[19:20], v[17:18], s[10:11], v[19:20]
	s_mov_b32 s10, 0x537c9ebc
	s_mov_b32 s11, 0xbfab1bbc
	v_fma_f64 v[10:11], v[6:7], v[12:13], -v[10:11]
	v_fma_f64 v[19:20], v[17:18], v[19:20], s[12:13]
	s_mov_b32 s12, 0x14761f6e
	s_mov_b32 s13, 0x3f2a01a0
	v_add_f64 v[10:11], v[10:11], s[10:11]
	s_mov_b32 s10, 0x7c89e6b0
	s_mov_b32 s11, 0x3efa0199
	v_fma_f64 v[19:20], v[17:18], v[19:20], s[10:11]
	s_mov_b32 s10, 0xd536f53c
	s_mov_b32 s11, 0x3fba46da
	v_fma_f64 v[12:13], v[6:7], v[10:11], -v[12:13]
	v_fma_f64 v[19:20], v[17:18], v[19:20], s[12:13]
	s_mov_b32 s12, 0x11122322
	s_mov_b32 s13, 0x3f811111
	v_add_f64 v[12:13], v[12:13], s[10:11]
	s_mov_b32 s10, 0x1852b7b0
	s_mov_b32 s11, 0x3f56c16c
	v_fma_f64 v[19:20], v[17:18], v[19:20], s[10:11]
	s_mov_b32 s10, 0x469192e
	s_mov_b32 s11, 0xbfc694d1
	v_fma_f64 v[10:11], v[6:7], v[12:13], -v[10:11]
	v_fma_f64 v[19:20], v[17:18], v[19:20], s[12:13]
	s_mov_b32 s12, 0x55555511
	s_mov_b32 s13, 0x3fc55555
	v_add_f64 v[10:11], v[10:11], s[10:11]
	s_mov_b32 s10, 0x555502a1
	s_mov_b32 s11, 0x3fa55555
	v_fma_f64 v[6:7], v[6:7], v[10:11], -v[12:13]
	v_fma_f64 v[10:11], v[17:18], v[19:20], s[10:11]
	s_mov_b32 s10, 0x724a7ffa
	s_mov_b32 s11, 0x3fd02a63
	v_add_f64 v[6:7], v[6:7], s[10:11]
	v_fma_f64 v[10:11], v[17:18], v[10:11], s[12:13]
	s_mov_b32 s10, 11
	s_mov_b32 s11, 0x3fe00000
	v_add_f64 v[6:7], v[6:7], -v[12:13]
	v_fma_f64 v[10:11], v[17:18], v[10:11], s[10:11]
                                        ; implicit-def: $vgpr12_vgpr13
	v_mul_f64 v[6:7], v[6:7], 0.5
	v_fma_f64 v[10:11], v[17:18], v[10:11], 1.0
	v_mul_f64 v[6:7], |v[2:3]|, v[6:7]
	v_fma_f64 v[10:11], v[17:18], v[10:11], 1.0
	s_and_saveexec_b64 s[10:11], vcc
	s_xor_b64 s[10:11], exec, s[10:11]
	s_cbranch_execz .LBB8_1627
; %bb.1626:
	s_mov_b32 s12, 0
	s_mov_b32 s13, 0x40900000
	v_ldexp_f64 v[10:11], v[10:11], v15
	v_cmp_ngt_f64_e64 vcc, |v[2:3]|, s[12:13]
	v_mov_b32_e32 v12, 0x7ff00000
                                        ; implicit-def: $vgpr15
	v_cndmask_b32_e32 v3, v12, v11, vcc
	v_cndmask_b32_e32 v2, 0, v10, vcc
	v_mul_f64 v[12:13], v[2:3], v[6:7]
                                        ; implicit-def: $vgpr10_vgpr11
                                        ; implicit-def: $vgpr2_vgpr3
                                        ; implicit-def: $vgpr6_vgpr7
.LBB8_1627:
	s_andn2_saveexec_b64 s[10:11], s[10:11]
	s_cbranch_execz .LBB8_1629
; %bb.1628:
	s_mov_b32 s12, 0
	s_mov_b32 s13, 0x40900000
	v_ldexp_f64 v[10:11], -v[10:11], v15
	v_cmp_ngt_f64_e64 vcc, |v[2:3]|, s[12:13]
	v_mov_b32_e32 v12, 0xfff00000
	v_cndmask_b32_e32 v3, v12, v11, vcc
	v_cndmask_b32_e32 v2, 0, v10, vcc
	v_mul_f64 v[12:13], v[2:3], v[6:7]
.LBB8_1629:
	s_or_b64 exec, exec, s[10:11]
                                        ; implicit-def: $vgpr2_vgpr3
.LBB8_1630:
	s_andn2_saveexec_b64 s[10:11], s[0:1]
	s_cbranch_execz .LBB8_1636
; %bb.1631:
	s_mov_b32 s0, 0
	v_and_b32_e32 v7, 0x7fffffff, v3
	v_mov_b32_e32 v6, v2
	s_mov_b32 s1, 0x40400000
	v_div_scale_f64 v[10:11], s[12:13], v[6:7], v[6:7], s[0:1]
	v_div_scale_f64 v[6:7], vcc, s[0:1], v[6:7], s[0:1]
	v_mov_b32_e32 v19, 0xfca7ab0c
	v_mov_b32_e32 v20, 0x3e928af3
	v_rcp_f64_e32 v[12:13], v[10:11]
	v_fma_f64 v[15:16], -v[10:11], v[12:13], 1.0
	v_fma_f64 v[12:13], v[12:13], v[15:16], v[12:13]
	v_fma_f64 v[15:16], -v[10:11], v[12:13], 1.0
	v_fma_f64 v[12:13], v[12:13], v[15:16], v[12:13]
	v_mul_f64 v[15:16], v[6:7], v[12:13]
	v_fma_f64 v[6:7], -v[10:11], v[15:16], v[6:7]
	v_mov_b32_e32 v10, 0xea87b950
	v_mov_b32_e32 v11, 0x3c545b8a
	v_div_fmas_f64 v[6:7], v[6:7], v[12:13], v[15:16]
	v_cmp_ngt_f64_e32 vcc, 0, v[2:3]
	v_div_fixup_f64 v[6:7], v[6:7], |v[2:3]|, s[0:1]
	s_mov_b32 s1, 0x3c61556d
	s_mov_b32 s0, 0xb352e8e6
	v_add_f64 v[6:7], v[6:7], -2.0
	v_fma_f64 v[10:11], v[6:7], s[0:1], v[10:11]
	s_mov_b32 s1, 0xbc61556d
	v_fma_f64 v[12:13], v[6:7], v[10:11], s[0:1]
	s_mov_b32 s0, 0xb2532277
	s_mov_b32 s1, 0xbc8acea3
	v_add_f64 v[12:13], v[12:13], s[0:1]
	s_mov_b32 s0, 0x9c773320
	s_mov_b32 s1, 0xbc82806c
	v_fma_f64 v[10:11], v[6:7], v[12:13], -v[10:11]
	v_add_f64 v[10:11], v[10:11], s[0:1]
	s_mov_b32 s0, 0xfceb588a
	s_mov_b32 s1, 0x3cb55915
	v_fma_f64 v[12:13], v[6:7], v[10:11], -v[12:13]
	;; [unrolled: 4-line block ×14, first 2 shown]
	v_add_f64 v[12:13], v[12:13], s[0:1]
	s_mov_b32 s0, 0x652b82fe
	s_mov_b32 s1, 0x3ff71547
	v_mul_f64 v[15:16], |v[2:3]|, s[0:1]
	s_mov_b32 s0, 0x5423dd80
	s_mov_b32 s1, 0xbe0334ca
	v_fma_f64 v[10:11], v[6:7], v[12:13], -v[10:11]
	v_rndne_f64_e32 v[15:16], v[15:16]
	v_add_f64 v[10:11], v[10:11], s[0:1]
	s_mov_b32 s0, 0xfefa39ef
	s_mov_b32 s1, 0xbfe62e42
	v_fma_f64 v[17:18], v[15:16], s[0:1], |v[2:3]|
	s_mov_b32 s0, 0x9ad53528
	s_mov_b32 s1, 0xbe30790b
	v_fma_f64 v[12:13], v[6:7], v[10:11], -v[12:13]
	v_add_f64 v[12:13], v[12:13], s[0:1]
	s_mov_b32 s0, 0x3b39803f
	s_mov_b32 s1, 0xbc7abc9e
	v_fma_f64 v[17:18], v[15:16], s[0:1], v[17:18]
	s_mov_b32 s0, 0x6a5dcb37
	s_mov_b32 s1, 0x3e5ade15
	v_cvt_i32_f64_e32 v15, v[15:16]
	v_fma_f64 v[10:11], v[6:7], v[12:13], -v[10:11]
	v_fma_f64 v[19:20], v[17:18], s[0:1], v[19:20]
	s_mov_b32 s0, 0x94bb46c1
	s_mov_b32 s1, 0xbe5c4153
	v_add_f64 v[10:11], v[10:11], s[0:1]
	s_mov_b32 s0, 0x623fde64
	s_mov_b32 s1, 0x3ec71dee
	v_fma_f64 v[19:20], v[17:18], v[19:20], s[0:1]
	s_mov_b32 s0, 0x7c89e6b0
	s_mov_b32 s1, 0x3efa0199
	v_fma_f64 v[12:13], v[6:7], v[10:11], -v[12:13]
	v_fma_f64 v[19:20], v[17:18], v[19:20], s[0:1]
	s_mov_b32 s0, 0x2e9e5443
	s_mov_b32 s1, 0xbe90dbfd
	v_add_f64 v[12:13], v[12:13], s[0:1]
	s_mov_b32 s0, 0x14761f6e
	s_mov_b32 s1, 0x3f2a01a0
	v_fma_f64 v[19:20], v[17:18], v[19:20], s[0:1]
	s_mov_b32 s0, 0x1852b7b0
	s_mov_b32 s1, 0x3f56c16c
	;; [unrolled: 10-line block ×4, first 2 shown]
	v_fma_f64 v[10:11], v[6:7], v[12:13], -v[10:11]
	v_fma_f64 v[19:20], v[17:18], v[19:20], s[0:1]
	s_mov_b32 s0, 0x53fcdb4c
	s_mov_b32 s1, 0xbf83fda0
	v_add_f64 v[10:11], v[10:11], s[0:1]
	s_mov_b32 s0, 0xb55b1514
	s_mov_b32 s1, 0x3fe8ea18
	v_fma_f64 v[19:20], v[17:18], v[19:20], 1.0
	v_fma_f64 v[6:7], v[6:7], v[10:11], -v[12:13]
	v_fma_f64 v[10:11], v[17:18], v[19:20], 1.0
	v_mov_b32_e32 v17, 0x7ff00000
	v_add_f64 v[6:7], v[6:7], s[0:1]
	s_mov_b32 s0, 0
	s_mov_b32 s1, 0x40900000
	v_ldexp_f64 v[15:16], v[10:11], v15
	v_cmp_ngt_f64_e64 s[0:1], |v[2:3]|, s[0:1]
	v_add_f64 v[10:11], v[6:7], -v[12:13]
                                        ; implicit-def: $vgpr12_vgpr13
	v_cndmask_b32_e64 v7, v17, v16, s[0:1]
	v_cndmask_b32_e64 v6, 0, v15, s[0:1]
	s_and_saveexec_b64 s[0:1], vcc
	s_xor_b64 s[0:1], exec, s[0:1]
	s_cbranch_execz .LBB8_1633
; %bb.1632:
	s_mov_b32 s12, 0
	s_brev_b32 s13, 8
	v_cmp_lt_f64_e64 vcc, |v[2:3]|, s[12:13]
	v_mov_b32_e32 v12, 0x100
	v_mul_f64 v[10:11], v[10:11], 0.5
	v_cndmask_b32_e32 v12, 0, v12, vcc
	v_ldexp_f64 v[2:3], |v[2:3]|, v12
	v_mul_f64 v[6:7], v[6:7], v[10:11]
	v_rsq_f64_e32 v[12:13], v[2:3]
	v_mul_f64 v[15:16], v[2:3], v[12:13]
	v_mul_f64 v[12:13], v[12:13], 0.5
	v_fma_f64 v[17:18], -v[12:13], v[15:16], 0.5
	v_fma_f64 v[15:16], v[15:16], v[17:18], v[15:16]
	v_fma_f64 v[12:13], v[12:13], v[17:18], v[12:13]
	v_fma_f64 v[17:18], -v[15:16], v[15:16], v[2:3]
	v_fma_f64 v[15:16], v[17:18], v[12:13], v[15:16]
	v_fma_f64 v[17:18], -v[15:16], v[15:16], v[2:3]
	v_fma_f64 v[12:13], v[17:18], v[12:13], v[15:16]
	v_mov_b32_e32 v15, 0xffffff80
	v_mov_b32_e32 v16, 0x260
	v_cndmask_b32_e32 v15, 0, v15, vcc
	v_cmp_class_f64_e32 vcc, v[2:3], v16
	v_ldexp_f64 v[12:13], v[12:13], v15
	v_cndmask_b32_e32 v3, v13, v3, vcc
	v_cndmask_b32_e32 v2, v12, v2, vcc
	v_div_scale_f64 v[10:11], s[12:13], v[2:3], v[2:3], v[6:7]
	v_div_scale_f64 v[17:18], vcc, v[6:7], v[2:3], v[6:7]
	v_rcp_f64_e32 v[12:13], v[10:11]
	v_fma_f64 v[15:16], -v[10:11], v[12:13], 1.0
	v_fma_f64 v[12:13], v[12:13], v[15:16], v[12:13]
	v_fma_f64 v[15:16], -v[10:11], v[12:13], 1.0
	v_fma_f64 v[12:13], v[12:13], v[15:16], v[12:13]
	v_mul_f64 v[15:16], v[17:18], v[12:13]
	v_fma_f64 v[10:11], -v[10:11], v[15:16], v[17:18]
	v_div_fmas_f64 v[10:11], v[10:11], v[12:13], v[15:16]
	v_div_fixup_f64 v[12:13], v[10:11], v[2:3], v[6:7]
                                        ; implicit-def: $vgpr2_vgpr3
                                        ; implicit-def: $vgpr10_vgpr11
                                        ; implicit-def: $vgpr6_vgpr7
.LBB8_1633:
	s_andn2_saveexec_b64 s[0:1], s[0:1]
	s_cbranch_execz .LBB8_1635
; %bb.1634:
	s_mov_b32 s12, 0
	s_brev_b32 s13, 8
	v_cmp_lt_f64_e64 vcc, |v[2:3]|, s[12:13]
	v_mov_b32_e32 v12, 0x100
	v_mul_f64 v[10:11], v[10:11], -0.5
	v_cndmask_b32_e32 v12, 0, v12, vcc
	v_ldexp_f64 v[2:3], |v[2:3]|, v12
	v_mul_f64 v[6:7], v[6:7], v[10:11]
	v_rsq_f64_e32 v[12:13], v[2:3]
	v_mul_f64 v[15:16], v[2:3], v[12:13]
	v_mul_f64 v[12:13], v[12:13], 0.5
	v_fma_f64 v[17:18], -v[12:13], v[15:16], 0.5
	v_fma_f64 v[15:16], v[15:16], v[17:18], v[15:16]
	v_fma_f64 v[12:13], v[12:13], v[17:18], v[12:13]
	v_fma_f64 v[17:18], -v[15:16], v[15:16], v[2:3]
	v_fma_f64 v[15:16], v[17:18], v[12:13], v[15:16]
	v_fma_f64 v[17:18], -v[15:16], v[15:16], v[2:3]
	v_fma_f64 v[12:13], v[17:18], v[12:13], v[15:16]
	v_mov_b32_e32 v15, 0xffffff80
	v_mov_b32_e32 v16, 0x260
	v_cndmask_b32_e32 v15, 0, v15, vcc
	v_cmp_class_f64_e32 vcc, v[2:3], v16
	v_ldexp_f64 v[12:13], v[12:13], v15
	v_cndmask_b32_e32 v3, v13, v3, vcc
	v_cndmask_b32_e32 v2, v12, v2, vcc
	v_div_scale_f64 v[10:11], s[12:13], v[2:3], v[2:3], v[6:7]
	v_div_scale_f64 v[17:18], vcc, v[6:7], v[2:3], v[6:7]
	v_rcp_f64_e32 v[12:13], v[10:11]
	v_fma_f64 v[15:16], -v[10:11], v[12:13], 1.0
	v_fma_f64 v[12:13], v[12:13], v[15:16], v[12:13]
	v_fma_f64 v[15:16], -v[10:11], v[12:13], 1.0
	v_fma_f64 v[12:13], v[12:13], v[15:16], v[12:13]
	v_mul_f64 v[15:16], v[17:18], v[12:13]
	v_fma_f64 v[10:11], -v[10:11], v[15:16], v[17:18]
	v_div_fmas_f64 v[10:11], v[10:11], v[12:13], v[15:16]
	v_div_fixup_f64 v[12:13], v[10:11], v[2:3], v[6:7]
.LBB8_1635:
	s_or_b64 exec, exec, s[0:1]
.LBB8_1636:
	s_or_b64 exec, exec, s[10:11]
	v_mul_lo_u32 v10, s2, v14
	v_mov_b32_e32 v2, s9
	s_and_b32 s20, s33, 0xff
	s_cmp_lt_i32 s20, 11
	v_ashrrev_i32_e32 v3, 31, v10
	v_add_co_u32_e32 v6, vcc, s8, v10
	v_addc_co_u32_e32 v7, vcc, v2, v3, vcc
	s_cbranch_scc1 .LBB8_1760
; %bb.1637:
	s_and_b32 s3, 0xffff, s20
	s_mov_b64 s[16:17], -1
	s_mov_b64 s[10:11], 0
	s_cmp_gt_i32 s3, 25
	s_mov_b64 s[12:13], 0
	s_mov_b64 s[0:1], 0
	s_cbranch_scc0 .LBB8_1670
; %bb.1638:
	s_cmp_gt_i32 s3, 28
	s_cbranch_scc0 .LBB8_1653
; %bb.1639:
	s_cmp_gt_i32 s3, 43
	;; [unrolled: 3-line block ×3, first 2 shown]
	s_cbranch_scc0 .LBB8_1643
; %bb.1641:
	s_mov_b64 s[0:1], -1
	s_mov_b64 s[16:17], 0
	s_cmp_eq_u32 s3, 46
	s_cbranch_scc0 .LBB8_1643
; %bb.1642:
	v_cvt_f32_f64_e32 v2, v[0:1]
	s_movk_i32 s0, 0x7fff
	v_mov_b32_e32 v3, 0x7fc0
	s_mov_b64 s[12:13], -1
	v_bfe_u32 v11, v2, 16, 1
	v_cmp_o_f32_e32 vcc, v2, v2
	v_add3_u32 v2, v2, v11, s0
	v_cndmask_b32_sdwa v2, v3, v2, vcc dst_sel:DWORD dst_unused:UNUSED_PAD src0_sel:DWORD src1_sel:WORD_1
	global_store_dword v[6:7], v2, off
	s_mov_b64 s[0:1], 0
.LBB8_1643:
	s_and_b64 vcc, exec, s[16:17]
	s_cbranch_vccz .LBB8_1648
; %bb.1644:
	s_cmp_eq_u32 s3, 44
	s_mov_b64 s[0:1], -1
	s_cbranch_scc0 .LBB8_1648
; %bb.1645:
	v_cvt_f32_f64_e32 v2, v[0:1]
	s_movk_i32 s0, 0xff
	v_mov_b32_e32 v11, 0xff
	v_bfe_u32 v3, v2, 23, 8
	v_cmp_ne_u32_e32 vcc, s0, v3
	s_and_saveexec_b64 s[12:13], vcc
; %bb.1646:
	s_mov_b32 s0, 0x3fffff
	v_lshrrev_b32_e32 v11, 23, v2
	v_and_b32_e32 v14, 0x400000, v2
	v_and_or_b32 v2, v2, s0, v3
	v_cmp_ne_u32_e32 vcc, 0, v14
	v_cmp_ne_u32_e64 s[0:1], 0, v2
	s_and_b64 s[0:1], vcc, s[0:1]
	v_cndmask_b32_e64 v2, 0, 1, s[0:1]
	v_add_u32_e32 v11, v11, v2
; %bb.1647:
	s_or_b64 exec, exec, s[12:13]
	s_mov_b64 s[0:1], 0
	s_mov_b64 s[12:13], -1
	global_store_byte v[6:7], v11, off
.LBB8_1648:
	s_mov_b64 s[16:17], 0
.LBB8_1649:
	s_and_b64 vcc, exec, s[16:17]
	s_cbranch_vccz .LBB8_1652
; %bb.1650:
	s_cmp_eq_u32 s3, 29
	s_mov_b64 s[0:1], -1
	s_cbranch_scc0 .LBB8_1652
; %bb.1651:
	v_trunc_f64_e32 v[2:3], v[0:1]
	s_movk_i32 s0, 0xffe0
	s_mov_b64 s[12:13], -1
	v_ldexp_f64 v[14:15], v[2:3], s0
	s_mov_b32 s0, 0
	s_mov_b32 s1, 0xc1f00000
	v_floor_f64_e32 v[14:15], v[14:15]
	v_fma_f64 v[2:3], v[14:15], s[0:1], v[2:3]
	v_cvt_u32_f64_e32 v15, v[14:15]
	s_mov_b64 s[0:1], 0
	v_cvt_u32_f64_e32 v14, v[2:3]
	global_store_dwordx2 v[6:7], v[14:15], off
.LBB8_1652:
	s_mov_b64 s[16:17], 0
.LBB8_1653:
	s_and_b64 vcc, exec, s[16:17]
	s_cbranch_vccz .LBB8_1669
; %bb.1654:
	s_cmp_lt_i32 s3, 27
	s_mov_b64 s[12:13], -1
	s_cbranch_scc1 .LBB8_1660
; %bb.1655:
	v_cvt_u32_f64_e32 v2, v[0:1]
	s_cmp_gt_i32 s3, 27
	s_cbranch_scc0 .LBB8_1657
; %bb.1656:
	s_mov_b64 s[12:13], 0
	global_store_dword v[6:7], v2, off
.LBB8_1657:
	s_andn2_b64 vcc, exec, s[12:13]
	s_cbranch_vccnz .LBB8_1659
; %bb.1658:
	global_store_short v[6:7], v2, off
.LBB8_1659:
	s_mov_b64 s[12:13], 0
.LBB8_1660:
	s_andn2_b64 vcc, exec, s[12:13]
	s_cbranch_vccnz .LBB8_1668
; %bb.1661:
	v_cvt_f32_f64_e32 v2, v[0:1]
	s_mov_b32 s12, 0x43800000
	v_mov_b32_e32 v11, 0x80
	v_and_b32_e32 v3, 0x7fffffff, v2
	v_cmp_gt_u32_e32 vcc, s12, v3
	s_and_saveexec_b64 s[12:13], vcc
	s_cbranch_execz .LBB8_1667
; %bb.1662:
	s_mov_b32 s16, 0x3bffffff
	v_cmp_lt_u32_e32 vcc, s16, v3
	s_mov_b64 s[16:17], 0
                                        ; implicit-def: $vgpr3
	s_and_saveexec_b64 s[18:19], vcc
	s_xor_b64 s[18:19], exec, s[18:19]
	s_cbranch_execz .LBB8_2118
; %bb.1663:
	v_bfe_u32 v3, v2, 20, 1
	s_mov_b32 s21, 0x487ffff
	v_add3_u32 v3, v2, v3, s21
	s_mov_b64 s[16:17], exec
	v_lshrrev_b32_e32 v3, 20, v3
	s_andn2_saveexec_b64 s[18:19], s[18:19]
	s_cbranch_execnz .LBB8_2119
.LBB8_1664:
	s_or_b64 exec, exec, s[18:19]
	v_mov_b32_e32 v11, 0
	s_and_saveexec_b64 s[18:19], s[16:17]
.LBB8_1665:
	v_lshrrev_b32_e32 v2, 24, v2
	s_movk_i32 s16, 0x80
	v_and_or_b32 v11, v2, s16, v3
.LBB8_1666:
	s_or_b64 exec, exec, s[18:19]
.LBB8_1667:
	s_or_b64 exec, exec, s[12:13]
	global_store_byte v[6:7], v11, off
.LBB8_1668:
	s_mov_b64 s[12:13], -1
.LBB8_1669:
	s_mov_b64 s[16:17], 0
.LBB8_1670:
	s_and_b64 vcc, exec, s[16:17]
	s_cbranch_vccz .LBB8_1710
; %bb.1671:
	s_cmp_gt_i32 s3, 22
	s_mov_b64 s[10:11], -1
	s_cbranch_scc0 .LBB8_1703
; %bb.1672:
	s_cmp_lt_i32 s3, 24
	s_cbranch_scc1 .LBB8_1692
; %bb.1673:
	s_cmp_gt_i32 s3, 24
	s_cbranch_scc0 .LBB8_1681
; %bb.1674:
	v_cvt_f32_f64_e32 v2, v[0:1]
	s_mov_b32 s10, 0x47800000
	v_mov_b32_e32 v11, 0x80
	v_and_b32_e32 v3, 0x7fffffff, v2
	v_cmp_gt_u32_e32 vcc, s10, v3
	s_and_saveexec_b64 s[10:11], vcc
	s_cbranch_execz .LBB8_1680
; %bb.1675:
	s_mov_b32 s12, 0x37ffffff
	v_cmp_lt_u32_e32 vcc, s12, v3
	s_mov_b64 s[12:13], 0
                                        ; implicit-def: $vgpr3
	s_and_saveexec_b64 s[16:17], vcc
	s_xor_b64 s[16:17], exec, s[16:17]
	s_cbranch_execz .LBB8_2121
; %bb.1676:
	v_bfe_u32 v3, v2, 21, 1
	s_mov_b32 s18, 0x88fffff
	v_add3_u32 v3, v2, v3, s18
	s_mov_b64 s[12:13], exec
	v_lshrrev_b32_e32 v3, 21, v3
	s_andn2_saveexec_b64 s[16:17], s[16:17]
	s_cbranch_execnz .LBB8_2122
.LBB8_1677:
	s_or_b64 exec, exec, s[16:17]
	v_mov_b32_e32 v11, 0
	s_and_saveexec_b64 s[16:17], s[12:13]
.LBB8_1678:
	v_lshrrev_b32_e32 v2, 24, v2
	s_movk_i32 s12, 0x80
	v_and_or_b32 v11, v2, s12, v3
.LBB8_1679:
	s_or_b64 exec, exec, s[16:17]
.LBB8_1680:
	s_or_b64 exec, exec, s[10:11]
	s_mov_b64 s[10:11], 0
	global_store_byte v[6:7], v11, off
.LBB8_1681:
	s_and_b64 vcc, exec, s[10:11]
	s_cbranch_vccz .LBB8_1691
; %bb.1682:
	v_cvt_f32_f64_e32 v2, v[0:1]
	s_mov_b32 s10, 0x43f00000
                                        ; implicit-def: $vgpr3
	v_and_b32_e32 v11, 0x7fffffff, v2
	v_cmp_gt_u32_e32 vcc, s10, v11
	s_and_saveexec_b64 s[10:11], vcc
	s_xor_b64 s[10:11], exec, s[10:11]
	s_cbranch_execz .LBB8_1688
; %bb.1683:
	s_mov_b32 s12, 0x3c7fffff
	v_cmp_lt_u32_e32 vcc, s12, v11
                                        ; implicit-def: $vgpr3
	s_and_saveexec_b64 s[12:13], vcc
	s_xor_b64 s[12:13], exec, s[12:13]
; %bb.1684:
	v_bfe_u32 v3, v2, 20, 1
	s_mov_b32 s16, 0x407ffff
	v_add3_u32 v3, v2, v3, s16
	v_lshrrev_b32_e32 v11, 20, v3
	v_and_b32_e32 v3, 0xff00000, v3
	s_mov_b32 s16, 0x7f00000
	v_mov_b32_e32 v14, 0x7e
	v_cmp_ne_u32_e32 vcc, s16, v3
	v_cndmask_b32_e32 v3, v14, v11, vcc
; %bb.1685:
	s_andn2_saveexec_b64 s[12:13], s[12:13]
; %bb.1686:
	s_mov_b32 s16, 0x46800000
	v_add_f32_e64 v3, |v2|, s16
; %bb.1687:
	s_or_b64 exec, exec, s[12:13]
                                        ; implicit-def: $vgpr11
.LBB8_1688:
	s_andn2_saveexec_b64 s[10:11], s[10:11]
; %bb.1689:
	s_mov_b32 s12, 0x7f800000
	v_mov_b32_e32 v3, 0x7e
	v_mov_b32_e32 v14, 0x7f
	v_cmp_lt_u32_e32 vcc, s12, v11
	v_cndmask_b32_e32 v3, v3, v14, vcc
; %bb.1690:
	s_or_b64 exec, exec, s[10:11]
	v_lshrrev_b32_e32 v2, 24, v2
	s_movk_i32 s10, 0x80
	v_and_or_b32 v2, v2, s10, v3
	global_store_byte v[6:7], v2, off
.LBB8_1691:
	s_mov_b64 s[10:11], 0
.LBB8_1692:
	s_andn2_b64 vcc, exec, s[10:11]
	s_cbranch_vccnz .LBB8_1702
; %bb.1693:
	v_cvt_f32_f64_e32 v2, v[0:1]
	s_mov_b32 s10, 0x47800000
                                        ; implicit-def: $vgpr3
	v_and_b32_e32 v11, 0x7fffffff, v2
	v_cmp_gt_u32_e32 vcc, s10, v11
	s_and_saveexec_b64 s[10:11], vcc
	s_xor_b64 s[10:11], exec, s[10:11]
	s_cbranch_execz .LBB8_1699
; %bb.1694:
	s_mov_b32 s12, 0x387fffff
	v_cmp_lt_u32_e32 vcc, s12, v11
                                        ; implicit-def: $vgpr3
	s_and_saveexec_b64 s[12:13], vcc
	s_xor_b64 s[12:13], exec, s[12:13]
; %bb.1695:
	v_bfe_u32 v3, v2, 21, 1
	s_mov_b32 s16, 0x80fffff
	v_add3_u32 v3, v2, v3, s16
	v_lshrrev_b32_e32 v3, 21, v3
; %bb.1696:
	s_andn2_saveexec_b64 s[12:13], s[12:13]
; %bb.1697:
	s_mov_b32 s16, 0x43000000
	v_add_f32_e64 v3, |v2|, s16
; %bb.1698:
	s_or_b64 exec, exec, s[12:13]
                                        ; implicit-def: $vgpr11
.LBB8_1699:
	s_andn2_saveexec_b64 s[10:11], s[10:11]
; %bb.1700:
	s_mov_b32 s12, 0x7f800000
	v_mov_b32_e32 v3, 0x7c
	v_mov_b32_e32 v14, 0x7f
	v_cmp_lt_u32_e32 vcc, s12, v11
	v_cndmask_b32_e32 v3, v3, v14, vcc
; %bb.1701:
	s_or_b64 exec, exec, s[10:11]
	v_lshrrev_b32_e32 v2, 24, v2
	s_movk_i32 s10, 0x80
	v_and_or_b32 v2, v2, s10, v3
	global_store_byte v[6:7], v2, off
.LBB8_1702:
	s_mov_b64 s[10:11], 0
	s_mov_b64 s[12:13], -1
.LBB8_1703:
	s_andn2_b64 vcc, exec, s[10:11]
	s_mov_b64 s[10:11], 0
	s_cbranch_vccnz .LBB8_1710
; %bb.1704:
	s_cmp_gt_i32 s3, 14
	s_mov_b64 s[16:17], -1
	s_cbranch_scc0 .LBB8_1708
; %bb.1705:
	s_cmp_eq_u32 s3, 15
	s_mov_b64 s[0:1], -1
	s_cbranch_scc0 .LBB8_1707
; %bb.1706:
	v_cvt_f32_f64_e32 v2, v[0:1]
	s_movk_i32 s0, 0x7fff
	v_mov_b32_e32 v3, 0x7fc0
	s_mov_b64 s[12:13], -1
	v_bfe_u32 v11, v2, 16, 1
	v_cmp_o_f32_e32 vcc, v2, v2
	v_add3_u32 v2, v2, v11, s0
	v_cndmask_b32_sdwa v2, v3, v2, vcc dst_sel:DWORD dst_unused:UNUSED_PAD src0_sel:DWORD src1_sel:WORD_1
	global_store_short v[6:7], v2, off
	s_mov_b64 s[0:1], 0
.LBB8_1707:
	s_mov_b64 s[16:17], 0
.LBB8_1708:
	s_and_b64 vcc, exec, s[16:17]
	s_cbranch_vccz .LBB8_1710
; %bb.1709:
	s_cmp_lg_u32 s3, 11
	s_mov_b64 s[10:11], -1
	s_cselect_b64 s[0:1], -1, 0
.LBB8_1710:
	s_and_b64 vcc, exec, s[0:1]
	s_cbranch_vccnz .LBB8_2120
; %bb.1711:
	s_andn2_b64 vcc, exec, s[10:11]
	s_cbranch_vccnz .LBB8_1713
.LBB8_1712:
	v_cmp_neq_f64_e32 vcc, 0, v[0:1]
	s_mov_b64 s[12:13], -1
	v_cndmask_b32_e64 v2, 0, 1, vcc
	global_store_byte v[6:7], v2, off
.LBB8_1713:
	s_mov_b64 s[0:1], 0
	s_branch .LBB8_1761
.LBB8_1714:
	s_mov_b64 s[0:1], 0
                                        ; implicit-def: $sgpr20
                                        ; implicit-def: $vgpr0_vgpr1
                                        ; implicit-def: $vgpr12_vgpr13
.LBB8_1715:
	s_mov_b64 s[2:3], 0
.LBB8_1716:
	s_and_b64 s[12:13], s[2:3], exec
	s_andn2_b64 s[2:3], s[6:7], exec
	s_and_b64 s[6:7], s[14:15], exec
	s_and_b64 s[0:1], s[0:1], exec
	s_or_b64 s[6:7], s[2:3], s[6:7]
.LBB8_1717:
	s_or_b64 exec, exec, s[4:5]
	s_and_saveexec_b64 s[2:3], s[6:7]
	s_cbranch_execz .LBB8_1720
; %bb.1718:
	; divergent unreachable
	s_or_b64 exec, exec, s[2:3]
	s_and_saveexec_b64 s[2:3], s[12:13]
	s_xor_b64 s[2:3], exec, s[2:3]
	s_cbranch_execnz .LBB8_1721
.LBB8_1719:
	s_or_b64 exec, exec, s[2:3]
	s_and_saveexec_b64 s[2:3], s[0:1]
	s_cbranch_execnz .LBB8_1722
	s_branch .LBB8_1759
.LBB8_1720:
	s_or_b64 exec, exec, s[2:3]
	s_and_saveexec_b64 s[2:3], s[12:13]
	s_xor_b64 s[2:3], exec, s[2:3]
	s_cbranch_execz .LBB8_1719
.LBB8_1721:
	v_cmp_neq_f64_e32 vcc, 0, v[12:13]
	s_waitcnt vmcnt(0)
	v_cndmask_b32_e64 v2, 0, 1, vcc
	global_store_byte v[0:1], v2, off
	s_or_b64 exec, exec, s[2:3]
	s_and_saveexec_b64 s[2:3], s[0:1]
	s_cbranch_execz .LBB8_1759
.LBB8_1722:
	s_sext_i32_i16 s2, s20
	s_cmp_lt_i32 s2, 5
	s_mov_b64 s[0:1], -1
	s_cbranch_scc1 .LBB8_1743
; %bb.1723:
	s_cmp_lt_i32 s2, 8
	s_cbranch_scc1 .LBB8_1733
; %bb.1724:
	s_cmp_lt_i32 s2, 9
	s_cbranch_scc1 .LBB8_1730
; %bb.1725:
	s_cmp_gt_i32 s2, 9
	s_cbranch_scc0 .LBB8_1727
; %bb.1726:
	v_mov_b32_e32 v14, 0
	v_mov_b32_e32 v15, v14
	global_store_dwordx4 v[0:1], v[12:15], off
	s_mov_b64 s[0:1], 0
.LBB8_1727:
	s_andn2_b64 vcc, exec, s[0:1]
	s_cbranch_vccnz .LBB8_1729
; %bb.1728:
	s_waitcnt vmcnt(0)
	v_cvt_f32_f64_e32 v2, v[12:13]
	v_mov_b32_e32 v3, 0
	global_store_dwordx2 v[0:1], v[2:3], off
.LBB8_1729:
	s_mov_b64 s[0:1], 0
.LBB8_1730:
	s_andn2_b64 vcc, exec, s[0:1]
	s_cbranch_vccnz .LBB8_1732
; %bb.1731:
	s_movk_i32 s0, 0x1ff
	s_waitcnt vmcnt(0)
	v_and_or_b32 v2, v13, s0, v12
	v_cmp_ne_u32_e32 vcc, 0, v2
	v_cndmask_b32_e64 v2, 0, 1, vcc
	v_lshrrev_b32_e32 v3, 8, v13
	s_movk_i32 s0, 0xffe
	v_bfe_u32 v4, v13, 20, 11
	v_and_or_b32 v2, v3, s0, v2
	v_sub_u32_e32 v5, 0x3f1, v4
	v_or_b32_e32 v3, 0x1000, v2
	v_med3_i32 v5, v5, 0, 13
	v_lshrrev_b32_e32 v6, v5, v3
	v_lshlrev_b32_e32 v5, v5, v6
	v_cmp_ne_u32_e32 vcc, v5, v3
	v_cndmask_b32_e64 v3, 0, 1, vcc
	v_add_u32_e32 v4, 0xfffffc10, v4
	v_or_b32_e32 v3, v6, v3
	v_lshl_or_b32 v5, v4, 12, v2
	v_cmp_gt_i32_e32 vcc, 1, v4
	v_cndmask_b32_e32 v3, v5, v3, vcc
	v_and_b32_e32 v5, 7, v3
	v_cmp_lt_i32_e32 vcc, 5, v5
	v_cndmask_b32_e64 v6, 0, 1, vcc
	v_cmp_eq_u32_e32 vcc, 3, v5
	v_cndmask_b32_e64 v5, 0, 1, vcc
	v_or_b32_e32 v5, v5, v6
	v_lshrrev_b32_e32 v3, 2, v3
	v_add_u32_e32 v3, v3, v5
	v_mov_b32_e32 v5, 0x7c00
	v_cmp_gt_i32_e32 vcc, 31, v4
	v_cndmask_b32_e32 v3, v5, v3, vcc
	v_mov_b32_e32 v6, 0x7e00
	v_cmp_ne_u32_e32 vcc, 0, v2
	s_movk_i32 s0, 0x40f
	v_cndmask_b32_e32 v2, v5, v6, vcc
	v_cmp_eq_u32_e32 vcc, s0, v4
	v_cndmask_b32_e32 v2, v3, v2, vcc
	v_lshrrev_b32_e32 v3, 16, v13
	s_mov_b32 s0, 0x8000
	v_and_or_b32 v2, v3, s0, v2
	v_and_b32_e32 v2, 0xffff, v2
	global_store_dword v[0:1], v2, off
.LBB8_1732:
	s_mov_b64 s[0:1], 0
.LBB8_1733:
	s_andn2_b64 vcc, exec, s[0:1]
	s_cbranch_vccnz .LBB8_1742
; %bb.1734:
	s_sext_i32_i16 s2, s20
	s_cmp_lt_i32 s2, 6
	s_mov_b64 s[0:1], -1
	s_cbranch_scc1 .LBB8_1740
; %bb.1735:
	s_cmp_gt_i32 s2, 6
	s_cbranch_scc0 .LBB8_1737
; %bb.1736:
	global_store_dwordx2 v[0:1], v[12:13], off
	s_mov_b64 s[0:1], 0
.LBB8_1737:
	s_andn2_b64 vcc, exec, s[0:1]
	s_cbranch_vccnz .LBB8_1739
; %bb.1738:
	s_waitcnt vmcnt(0)
	v_cvt_f32_f64_e32 v2, v[12:13]
	global_store_dword v[0:1], v2, off
.LBB8_1739:
	s_mov_b64 s[0:1], 0
.LBB8_1740:
	s_andn2_b64 vcc, exec, s[0:1]
	s_cbranch_vccnz .LBB8_1742
; %bb.1741:
	s_movk_i32 s0, 0x1ff
	s_waitcnt vmcnt(0)
	v_and_or_b32 v2, v13, s0, v12
	v_cmp_ne_u32_e32 vcc, 0, v2
	v_cndmask_b32_e64 v2, 0, 1, vcc
	v_lshrrev_b32_e32 v3, 8, v13
	s_movk_i32 s0, 0xffe
	v_bfe_u32 v4, v13, 20, 11
	v_and_or_b32 v2, v3, s0, v2
	v_sub_u32_e32 v5, 0x3f1, v4
	v_or_b32_e32 v3, 0x1000, v2
	v_med3_i32 v5, v5, 0, 13
	v_lshrrev_b32_e32 v6, v5, v3
	v_lshlrev_b32_e32 v5, v5, v6
	v_cmp_ne_u32_e32 vcc, v5, v3
	v_cndmask_b32_e64 v3, 0, 1, vcc
	v_add_u32_e32 v4, 0xfffffc10, v4
	v_or_b32_e32 v3, v6, v3
	v_lshl_or_b32 v5, v4, 12, v2
	v_cmp_gt_i32_e32 vcc, 1, v4
	v_cndmask_b32_e32 v3, v5, v3, vcc
	v_and_b32_e32 v5, 7, v3
	v_cmp_lt_i32_e32 vcc, 5, v5
	v_cndmask_b32_e64 v6, 0, 1, vcc
	v_cmp_eq_u32_e32 vcc, 3, v5
	v_cndmask_b32_e64 v5, 0, 1, vcc
	v_or_b32_e32 v5, v5, v6
	v_lshrrev_b32_e32 v3, 2, v3
	v_add_u32_e32 v3, v3, v5
	v_mov_b32_e32 v5, 0x7c00
	v_cmp_gt_i32_e32 vcc, 31, v4
	v_cndmask_b32_e32 v3, v5, v3, vcc
	v_mov_b32_e32 v6, 0x7e00
	v_cmp_ne_u32_e32 vcc, 0, v2
	s_movk_i32 s0, 0x40f
	v_cndmask_b32_e32 v2, v5, v6, vcc
	v_cmp_eq_u32_e32 vcc, s0, v4
	v_cndmask_b32_e32 v2, v3, v2, vcc
	v_lshrrev_b32_e32 v3, 16, v13
	s_mov_b32 s0, 0x8000
	v_and_or_b32 v2, v3, s0, v2
	global_store_short v[0:1], v2, off
.LBB8_1742:
	s_mov_b64 s[0:1], 0
.LBB8_1743:
	s_andn2_b64 vcc, exec, s[0:1]
	s_cbranch_vccnz .LBB8_1759
; %bb.1744:
	s_sext_i32_i16 s2, s20
	s_cmp_lt_i32 s2, 2
	s_mov_b64 s[0:1], -1
	s_cbranch_scc1 .LBB8_1754
; %bb.1745:
	s_cmp_lt_i32 s2, 3
	s_cbranch_scc1 .LBB8_1751
; %bb.1746:
	s_cmp_gt_i32 s2, 3
	s_cbranch_scc0 .LBB8_1748
; %bb.1747:
	s_waitcnt vmcnt(0)
	v_trunc_f64_e32 v[2:3], v[12:13]
	s_movk_i32 s0, 0xffe0
	v_ldexp_f64 v[4:5], v[2:3], s0
	s_mov_b32 s0, 0
	s_mov_b32 s1, 0xc1f00000
	v_floor_f64_e32 v[4:5], v[4:5]
	v_fma_f64 v[2:3], v[4:5], s[0:1], v[2:3]
	v_cvt_i32_f64_e32 v4, v[4:5]
	s_mov_b64 s[0:1], 0
	v_cvt_u32_f64_e32 v3, v[2:3]
	global_store_dwordx2 v[0:1], v[3:4], off
.LBB8_1748:
	s_andn2_b64 vcc, exec, s[0:1]
	s_cbranch_vccnz .LBB8_1750
; %bb.1749:
	s_waitcnt vmcnt(0)
	v_cvt_i32_f64_e32 v2, v[12:13]
	global_store_dword v[0:1], v2, off
.LBB8_1750:
	s_mov_b64 s[0:1], 0
.LBB8_1751:
	s_andn2_b64 vcc, exec, s[0:1]
	s_cbranch_vccnz .LBB8_1753
; %bb.1752:
	s_waitcnt vmcnt(0)
	v_cvt_i32_f64_e32 v2, v[12:13]
	global_store_short v[0:1], v2, off
.LBB8_1753:
	s_mov_b64 s[0:1], 0
.LBB8_1754:
	s_andn2_b64 vcc, exec, s[0:1]
	s_cbranch_vccnz .LBB8_1759
; %bb.1755:
	s_sext_i32_i16 s0, s20
	s_cmp_gt_i32 s0, 0
	s_mov_b64 s[0:1], -1
	s_cbranch_scc0 .LBB8_1757
; %bb.1756:
	s_waitcnt vmcnt(0)
	v_cvt_i32_f64_e32 v2, v[12:13]
	s_mov_b64 s[0:1], 0
	global_store_byte v[0:1], v2, off
.LBB8_1757:
	s_andn2_b64 vcc, exec, s[0:1]
	s_cbranch_vccnz .LBB8_1759
; %bb.1758:
	s_waitcnt vmcnt(0)
	v_trunc_f64_e32 v[2:3], v[12:13]
	s_movk_i32 s0, 0xffe0
	v_ldexp_f64 v[4:5], v[2:3], s0
	s_mov_b32 s0, 0
	s_mov_b32 s1, 0xc1f00000
	v_floor_f64_e32 v[4:5], v[4:5]
	v_fma_f64 v[2:3], v[4:5], s[0:1], v[2:3]
	v_cvt_u32_f64_e32 v2, v[2:3]
	global_store_byte v[0:1], v2, off
	s_endpgm
.LBB8_1759:
	s_endpgm
.LBB8_1760:
	s_mov_b64 s[0:1], -1
	s_mov_b64 s[12:13], 0
.LBB8_1761:
	s_and_b64 vcc, exec, s[0:1]
	s_cbranch_vccz .LBB8_1800
; %bb.1762:
	s_and_b32 s3, 0xffff, s20
	s_cmp_lt_i32 s3, 5
	s_mov_b64 s[0:1], -1
	s_cbranch_scc1 .LBB8_1783
; %bb.1763:
	s_cmp_lt_i32 s3, 8
	s_cbranch_scc1 .LBB8_1773
; %bb.1764:
	s_cmp_lt_i32 s3, 9
	s_cbranch_scc1 .LBB8_1770
; %bb.1765:
	s_cmp_gt_i32 s3, 9
	s_cbranch_scc0 .LBB8_1767
; %bb.1766:
	v_mov_b32_e32 v2, 0
	v_mov_b32_e32 v3, v2
	global_store_dwordx4 v[6:7], v[0:3], off
	s_mov_b64 s[0:1], 0
.LBB8_1767:
	s_andn2_b64 vcc, exec, s[0:1]
	s_cbranch_vccnz .LBB8_1769
; %bb.1768:
	v_cvt_f32_f64_e32 v2, v[0:1]
	v_mov_b32_e32 v3, 0
	global_store_dwordx2 v[6:7], v[2:3], off
.LBB8_1769:
	s_mov_b64 s[0:1], 0
.LBB8_1770:
	s_andn2_b64 vcc, exec, s[0:1]
	s_cbranch_vccnz .LBB8_1772
; %bb.1771:
	s_movk_i32 s0, 0x1ff
	v_and_or_b32 v2, v1, s0, v0
	v_cmp_ne_u32_e32 vcc, 0, v2
	v_cndmask_b32_e64 v2, 0, 1, vcc
	v_lshrrev_b32_e32 v3, 8, v1
	s_movk_i32 s0, 0xffe
	v_bfe_u32 v11, v1, 20, 11
	v_and_or_b32 v2, v3, s0, v2
	v_sub_u32_e32 v14, 0x3f1, v11
	v_or_b32_e32 v3, 0x1000, v2
	v_med3_i32 v14, v14, 0, 13
	v_lshrrev_b32_e32 v15, v14, v3
	v_lshlrev_b32_e32 v14, v14, v15
	v_cmp_ne_u32_e32 vcc, v14, v3
	v_cndmask_b32_e64 v3, 0, 1, vcc
	v_add_u32_e32 v11, 0xfffffc10, v11
	v_or_b32_e32 v3, v15, v3
	v_lshl_or_b32 v14, v11, 12, v2
	v_cmp_gt_i32_e32 vcc, 1, v11
	v_cndmask_b32_e32 v3, v14, v3, vcc
	v_and_b32_e32 v14, 7, v3
	v_cmp_lt_i32_e32 vcc, 5, v14
	v_cndmask_b32_e64 v15, 0, 1, vcc
	v_cmp_eq_u32_e32 vcc, 3, v14
	v_cndmask_b32_e64 v14, 0, 1, vcc
	v_or_b32_e32 v14, v14, v15
	v_lshrrev_b32_e32 v3, 2, v3
	v_add_u32_e32 v3, v3, v14
	v_mov_b32_e32 v14, 0x7c00
	v_cmp_gt_i32_e32 vcc, 31, v11
	v_cndmask_b32_e32 v3, v14, v3, vcc
	v_mov_b32_e32 v15, 0x7e00
	v_cmp_ne_u32_e32 vcc, 0, v2
	s_movk_i32 s0, 0x40f
	v_cndmask_b32_e32 v2, v14, v15, vcc
	v_cmp_eq_u32_e32 vcc, s0, v11
	v_cndmask_b32_e32 v2, v3, v2, vcc
	v_lshrrev_b32_e32 v3, 16, v1
	s_mov_b32 s0, 0x8000
	v_and_or_b32 v2, v3, s0, v2
	v_and_b32_e32 v2, 0xffff, v2
	global_store_dword v[6:7], v2, off
.LBB8_1772:
	s_mov_b64 s[0:1], 0
.LBB8_1773:
	s_andn2_b64 vcc, exec, s[0:1]
	s_cbranch_vccnz .LBB8_1782
; %bb.1774:
	s_cmp_lt_i32 s3, 6
	s_mov_b64 s[0:1], -1
	s_cbranch_scc1 .LBB8_1780
; %bb.1775:
	s_cmp_gt_i32 s3, 6
	s_cbranch_scc0 .LBB8_1777
; %bb.1776:
	global_store_dwordx2 v[6:7], v[0:1], off
	s_mov_b64 s[0:1], 0
.LBB8_1777:
	s_andn2_b64 vcc, exec, s[0:1]
	s_cbranch_vccnz .LBB8_1779
; %bb.1778:
	v_cvt_f32_f64_e32 v2, v[0:1]
	global_store_dword v[6:7], v2, off
.LBB8_1779:
	s_mov_b64 s[0:1], 0
.LBB8_1780:
	s_andn2_b64 vcc, exec, s[0:1]
	s_cbranch_vccnz .LBB8_1782
; %bb.1781:
	s_movk_i32 s0, 0x1ff
	v_and_or_b32 v2, v1, s0, v0
	v_cmp_ne_u32_e32 vcc, 0, v2
	v_cndmask_b32_e64 v2, 0, 1, vcc
	v_lshrrev_b32_e32 v3, 8, v1
	s_movk_i32 s0, 0xffe
	v_bfe_u32 v11, v1, 20, 11
	v_and_or_b32 v2, v3, s0, v2
	v_sub_u32_e32 v14, 0x3f1, v11
	v_or_b32_e32 v3, 0x1000, v2
	v_med3_i32 v14, v14, 0, 13
	v_lshrrev_b32_e32 v15, v14, v3
	v_lshlrev_b32_e32 v14, v14, v15
	v_cmp_ne_u32_e32 vcc, v14, v3
	v_cndmask_b32_e64 v3, 0, 1, vcc
	v_add_u32_e32 v11, 0xfffffc10, v11
	v_or_b32_e32 v3, v15, v3
	v_lshl_or_b32 v14, v11, 12, v2
	v_cmp_gt_i32_e32 vcc, 1, v11
	v_cndmask_b32_e32 v3, v14, v3, vcc
	v_and_b32_e32 v14, 7, v3
	v_cmp_lt_i32_e32 vcc, 5, v14
	v_cndmask_b32_e64 v15, 0, 1, vcc
	v_cmp_eq_u32_e32 vcc, 3, v14
	v_cndmask_b32_e64 v14, 0, 1, vcc
	v_or_b32_e32 v14, v14, v15
	v_lshrrev_b32_e32 v3, 2, v3
	v_add_u32_e32 v3, v3, v14
	v_mov_b32_e32 v14, 0x7c00
	v_cmp_gt_i32_e32 vcc, 31, v11
	v_cndmask_b32_e32 v3, v14, v3, vcc
	v_mov_b32_e32 v15, 0x7e00
	v_cmp_ne_u32_e32 vcc, 0, v2
	s_movk_i32 s0, 0x40f
	v_cndmask_b32_e32 v2, v14, v15, vcc
	v_cmp_eq_u32_e32 vcc, s0, v11
	v_cndmask_b32_e32 v2, v3, v2, vcc
	v_lshrrev_b32_e32 v3, 16, v1
	s_mov_b32 s0, 0x8000
	v_and_or_b32 v2, v3, s0, v2
	global_store_short v[6:7], v2, off
.LBB8_1782:
	s_mov_b64 s[0:1], 0
.LBB8_1783:
	s_andn2_b64 vcc, exec, s[0:1]
	s_cbranch_vccnz .LBB8_1799
; %bb.1784:
	s_cmp_lt_i32 s3, 2
	s_mov_b64 s[0:1], -1
	s_cbranch_scc1 .LBB8_1794
; %bb.1785:
	s_cmp_lt_i32 s3, 3
	s_cbranch_scc1 .LBB8_1791
; %bb.1786:
	s_cmp_gt_i32 s3, 3
	s_cbranch_scc0 .LBB8_1788
; %bb.1787:
	v_trunc_f64_e32 v[2:3], v[0:1]
	s_movk_i32 s0, 0xffe0
	v_ldexp_f64 v[14:15], v[2:3], s0
	s_mov_b32 s0, 0
	s_mov_b32 s1, 0xc1f00000
	v_floor_f64_e32 v[14:15], v[14:15]
	v_fma_f64 v[2:3], v[14:15], s[0:1], v[2:3]
	v_cvt_i32_f64_e32 v15, v[14:15]
	s_mov_b64 s[0:1], 0
	v_cvt_u32_f64_e32 v14, v[2:3]
	global_store_dwordx2 v[6:7], v[14:15], off
.LBB8_1788:
	s_andn2_b64 vcc, exec, s[0:1]
	s_cbranch_vccnz .LBB8_1790
; %bb.1789:
	v_cvt_i32_f64_e32 v2, v[0:1]
	global_store_dword v[6:7], v2, off
.LBB8_1790:
	s_mov_b64 s[0:1], 0
.LBB8_1791:
	s_andn2_b64 vcc, exec, s[0:1]
	s_cbranch_vccnz .LBB8_1793
; %bb.1792:
	v_cvt_i32_f64_e32 v2, v[0:1]
	global_store_short v[6:7], v2, off
.LBB8_1793:
	s_mov_b64 s[0:1], 0
.LBB8_1794:
	s_andn2_b64 vcc, exec, s[0:1]
	s_cbranch_vccnz .LBB8_1799
; %bb.1795:
	s_cmp_gt_i32 s3, 0
	s_mov_b64 s[0:1], -1
	s_cbranch_scc0 .LBB8_1797
; %bb.1796:
	v_cvt_i32_f64_e32 v2, v[0:1]
	s_mov_b64 s[0:1], 0
	global_store_byte v[6:7], v2, off
.LBB8_1797:
	s_andn2_b64 vcc, exec, s[0:1]
	s_cbranch_vccnz .LBB8_1799
; %bb.1798:
	v_trunc_f64_e32 v[0:1], v[0:1]
	s_movk_i32 s0, 0xffe0
	v_ldexp_f64 v[2:3], v[0:1], s0
	s_mov_b32 s0, 0
	s_mov_b32 s1, 0xc1f00000
	v_floor_f64_e32 v[2:3], v[2:3]
	v_fma_f64 v[0:1], v[2:3], s[0:1], v[0:1]
	v_cvt_u32_f64_e32 v0, v[0:1]
	global_store_byte v[6:7], v0, off
.LBB8_1799:
	s_mov_b64 s[12:13], -1
.LBB8_1800:
	s_andn2_b64 vcc, exec, s[12:13]
	s_cbranch_vccnz .LBB8_2115
; %bb.1801:
	s_lshl_b32 s18, s2, 7
	v_add_u32_e32 v2, s18, v10
	v_ashrrev_i32_e32 v1, 31, v2
	v_mov_b32_e32 v3, s9
	v_add_co_u32_e32 v0, vcc, s8, v2
	s_cmp_lt_i32 s20, 11
	v_addc_co_u32_e32 v1, vcc, v3, v1, vcc
	s_cbranch_scc1 .LBB8_1879
; %bb.1802:
	s_and_b32 s19, 0xffff, s20
	s_mov_b64 s[12:13], -1
	s_mov_b64 s[2:3], 0
	s_cmp_gt_i32 s19, 25
	s_mov_b64 s[10:11], 0
	s_mov_b64 s[0:1], 0
	s_cbranch_scc0 .LBB8_1835
; %bb.1803:
	s_cmp_gt_i32 s19, 28
	s_cbranch_scc0 .LBB8_1818
; %bb.1804:
	s_cmp_gt_i32 s19, 43
	;; [unrolled: 3-line block ×3, first 2 shown]
	s_cbranch_scc0 .LBB8_1808
; %bb.1806:
	s_mov_b64 s[0:1], -1
	s_mov_b64 s[12:13], 0
	s_cmp_eq_u32 s19, 46
	s_cbranch_scc0 .LBB8_1808
; %bb.1807:
	v_cvt_f32_f64_e32 v3, v[4:5]
	s_movk_i32 s0, 0x7fff
	v_mov_b32_e32 v6, 0x7fc0
	s_mov_b64 s[10:11], -1
	v_bfe_u32 v7, v3, 16, 1
	v_cmp_o_f32_e32 vcc, v3, v3
	v_add3_u32 v3, v3, v7, s0
	v_cndmask_b32_sdwa v3, v6, v3, vcc dst_sel:DWORD dst_unused:UNUSED_PAD src0_sel:DWORD src1_sel:WORD_1
	global_store_dword v[0:1], v3, off
	s_mov_b64 s[0:1], 0
.LBB8_1808:
	s_and_b64 vcc, exec, s[12:13]
	s_cbranch_vccz .LBB8_1813
; %bb.1809:
	s_cmp_eq_u32 s19, 44
	s_mov_b64 s[0:1], -1
	s_cbranch_scc0 .LBB8_1813
; %bb.1810:
	v_cvt_f32_f64_e32 v3, v[4:5]
	s_movk_i32 s0, 0xff
	v_mov_b32_e32 v7, 0xff
	v_bfe_u32 v6, v3, 23, 8
	v_cmp_ne_u32_e32 vcc, s0, v6
	s_and_saveexec_b64 s[10:11], vcc
; %bb.1811:
	s_mov_b32 s0, 0x3fffff
	v_lshrrev_b32_e32 v7, 23, v3
	v_and_b32_e32 v10, 0x400000, v3
	v_and_or_b32 v3, v3, s0, v6
	v_cmp_ne_u32_e32 vcc, 0, v10
	v_cmp_ne_u32_e64 s[0:1], 0, v3
	s_and_b64 s[0:1], vcc, s[0:1]
	v_cndmask_b32_e64 v3, 0, 1, s[0:1]
	v_add_u32_e32 v7, v7, v3
; %bb.1812:
	s_or_b64 exec, exec, s[10:11]
	s_mov_b64 s[0:1], 0
	s_mov_b64 s[10:11], -1
	global_store_byte v[0:1], v7, off
.LBB8_1813:
	s_mov_b64 s[12:13], 0
.LBB8_1814:
	s_and_b64 vcc, exec, s[12:13]
	s_cbranch_vccz .LBB8_1817
; %bb.1815:
	s_cmp_eq_u32 s19, 29
	s_mov_b64 s[0:1], -1
	s_cbranch_scc0 .LBB8_1817
; %bb.1816:
	v_trunc_f64_e32 v[6:7], v[4:5]
	s_movk_i32 s0, 0xffe0
	s_mov_b64 s[10:11], -1
	v_ldexp_f64 v[10:11], v[6:7], s0
	s_mov_b32 s0, 0
	s_mov_b32 s1, 0xc1f00000
	v_floor_f64_e32 v[10:11], v[10:11]
	v_fma_f64 v[6:7], v[10:11], s[0:1], v[6:7]
	v_cvt_u32_f64_e32 v11, v[10:11]
	s_mov_b64 s[0:1], 0
	v_cvt_u32_f64_e32 v10, v[6:7]
	global_store_dwordx2 v[0:1], v[10:11], off
.LBB8_1817:
	s_mov_b64 s[12:13], 0
.LBB8_1818:
	s_and_b64 vcc, exec, s[12:13]
	s_cbranch_vccz .LBB8_1834
; %bb.1819:
	s_cmp_lt_i32 s19, 27
	s_mov_b64 s[10:11], -1
	s_cbranch_scc1 .LBB8_1825
; %bb.1820:
	v_cvt_u32_f64_e32 v3, v[4:5]
	s_cmp_gt_i32 s19, 27
	s_cbranch_scc0 .LBB8_1822
; %bb.1821:
	s_mov_b64 s[10:11], 0
	global_store_dword v[0:1], v3, off
.LBB8_1822:
	s_andn2_b64 vcc, exec, s[10:11]
	s_cbranch_vccnz .LBB8_1824
; %bb.1823:
	global_store_short v[0:1], v3, off
.LBB8_1824:
	s_mov_b64 s[10:11], 0
.LBB8_1825:
	s_andn2_b64 vcc, exec, s[10:11]
	s_cbranch_vccnz .LBB8_1833
; %bb.1826:
	v_cvt_f32_f64_e32 v3, v[4:5]
	s_mov_b32 s10, 0x43800000
	v_mov_b32_e32 v7, 0x80
	v_and_b32_e32 v6, 0x7fffffff, v3
	v_cmp_gt_u32_e32 vcc, s10, v6
	s_and_saveexec_b64 s[10:11], vcc
	s_cbranch_execz .LBB8_1832
; %bb.1827:
	s_mov_b32 s12, 0x3bffffff
	v_cmp_lt_u32_e32 vcc, s12, v6
	s_mov_b64 s[12:13], 0
                                        ; implicit-def: $vgpr6
	s_and_saveexec_b64 s[16:17], vcc
	s_xor_b64 s[16:17], exec, s[16:17]
	s_cbranch_execz .LBB8_2123
; %bb.1828:
	v_bfe_u32 v6, v3, 20, 1
	s_mov_b32 s21, 0x487ffff
	v_add3_u32 v6, v3, v6, s21
	s_mov_b64 s[12:13], exec
	v_lshrrev_b32_e32 v6, 20, v6
	s_andn2_saveexec_b64 s[16:17], s[16:17]
	s_cbranch_execnz .LBB8_2124
.LBB8_1829:
	s_or_b64 exec, exec, s[16:17]
	v_mov_b32_e32 v7, 0
	s_and_saveexec_b64 s[16:17], s[12:13]
.LBB8_1830:
	v_lshrrev_b32_e32 v3, 24, v3
	s_movk_i32 s12, 0x80
	v_and_or_b32 v7, v3, s12, v6
.LBB8_1831:
	s_or_b64 exec, exec, s[16:17]
.LBB8_1832:
	s_or_b64 exec, exec, s[10:11]
	global_store_byte v[0:1], v7, off
.LBB8_1833:
	s_mov_b64 s[10:11], -1
.LBB8_1834:
	s_mov_b64 s[12:13], 0
.LBB8_1835:
	s_and_b64 vcc, exec, s[12:13]
	s_cbranch_vccz .LBB8_1875
; %bb.1836:
	s_cmp_gt_i32 s19, 22
	s_mov_b64 s[2:3], -1
	s_cbranch_scc0 .LBB8_1868
; %bb.1837:
	s_cmp_lt_i32 s19, 24
	s_cbranch_scc1 .LBB8_1857
; %bb.1838:
	s_cmp_gt_i32 s19, 24
	s_cbranch_scc0 .LBB8_1846
; %bb.1839:
	v_cvt_f32_f64_e32 v3, v[4:5]
	s_mov_b32 s2, 0x47800000
	v_mov_b32_e32 v7, 0x80
	v_and_b32_e32 v6, 0x7fffffff, v3
	v_cmp_gt_u32_e32 vcc, s2, v6
	s_and_saveexec_b64 s[2:3], vcc
	s_cbranch_execz .LBB8_1845
; %bb.1840:
	s_mov_b32 s10, 0x37ffffff
	v_cmp_lt_u32_e32 vcc, s10, v6
	s_mov_b64 s[10:11], 0
                                        ; implicit-def: $vgpr6
	s_and_saveexec_b64 s[12:13], vcc
	s_xor_b64 s[12:13], exec, s[12:13]
	s_cbranch_execz .LBB8_2126
; %bb.1841:
	v_bfe_u32 v6, v3, 21, 1
	s_mov_b32 s16, 0x88fffff
	v_add3_u32 v6, v3, v6, s16
	s_mov_b64 s[10:11], exec
	v_lshrrev_b32_e32 v6, 21, v6
	s_andn2_saveexec_b64 s[12:13], s[12:13]
	s_cbranch_execnz .LBB8_2127
.LBB8_1842:
	s_or_b64 exec, exec, s[12:13]
	v_mov_b32_e32 v7, 0
	s_and_saveexec_b64 s[12:13], s[10:11]
.LBB8_1843:
	v_lshrrev_b32_e32 v3, 24, v3
	s_movk_i32 s10, 0x80
	v_and_or_b32 v7, v3, s10, v6
.LBB8_1844:
	s_or_b64 exec, exec, s[12:13]
.LBB8_1845:
	s_or_b64 exec, exec, s[2:3]
	s_mov_b64 s[2:3], 0
	global_store_byte v[0:1], v7, off
.LBB8_1846:
	s_and_b64 vcc, exec, s[2:3]
	s_cbranch_vccz .LBB8_1856
; %bb.1847:
	v_cvt_f32_f64_e32 v3, v[4:5]
	s_mov_b32 s2, 0x43f00000
                                        ; implicit-def: $vgpr6
	v_and_b32_e32 v7, 0x7fffffff, v3
	v_cmp_gt_u32_e32 vcc, s2, v7
	s_and_saveexec_b64 s[2:3], vcc
	s_xor_b64 s[2:3], exec, s[2:3]
	s_cbranch_execz .LBB8_1853
; %bb.1848:
	s_mov_b32 s10, 0x3c7fffff
	v_cmp_lt_u32_e32 vcc, s10, v7
                                        ; implicit-def: $vgpr6
	s_and_saveexec_b64 s[10:11], vcc
	s_xor_b64 s[10:11], exec, s[10:11]
; %bb.1849:
	v_bfe_u32 v6, v3, 20, 1
	s_mov_b32 s12, 0x407ffff
	v_add3_u32 v6, v3, v6, s12
	v_lshrrev_b32_e32 v7, 20, v6
	v_and_b32_e32 v6, 0xff00000, v6
	s_mov_b32 s12, 0x7f00000
	v_mov_b32_e32 v10, 0x7e
	v_cmp_ne_u32_e32 vcc, s12, v6
	v_cndmask_b32_e32 v6, v10, v7, vcc
; %bb.1850:
	s_andn2_saveexec_b64 s[10:11], s[10:11]
; %bb.1851:
	s_mov_b32 s12, 0x46800000
	v_add_f32_e64 v6, |v3|, s12
; %bb.1852:
	s_or_b64 exec, exec, s[10:11]
                                        ; implicit-def: $vgpr7
.LBB8_1853:
	s_andn2_saveexec_b64 s[2:3], s[2:3]
; %bb.1854:
	s_mov_b32 s10, 0x7f800000
	v_mov_b32_e32 v6, 0x7e
	v_mov_b32_e32 v10, 0x7f
	v_cmp_lt_u32_e32 vcc, s10, v7
	v_cndmask_b32_e32 v6, v6, v10, vcc
; %bb.1855:
	s_or_b64 exec, exec, s[2:3]
	v_lshrrev_b32_e32 v3, 24, v3
	s_movk_i32 s2, 0x80
	v_and_or_b32 v3, v3, s2, v6
	global_store_byte v[0:1], v3, off
.LBB8_1856:
	s_mov_b64 s[2:3], 0
.LBB8_1857:
	s_andn2_b64 vcc, exec, s[2:3]
	s_cbranch_vccnz .LBB8_1867
; %bb.1858:
	v_cvt_f32_f64_e32 v3, v[4:5]
	s_mov_b32 s2, 0x47800000
                                        ; implicit-def: $vgpr6
	v_and_b32_e32 v7, 0x7fffffff, v3
	v_cmp_gt_u32_e32 vcc, s2, v7
	s_and_saveexec_b64 s[2:3], vcc
	s_xor_b64 s[2:3], exec, s[2:3]
	s_cbranch_execz .LBB8_1864
; %bb.1859:
	s_mov_b32 s10, 0x387fffff
	v_cmp_lt_u32_e32 vcc, s10, v7
                                        ; implicit-def: $vgpr6
	s_and_saveexec_b64 s[10:11], vcc
	s_xor_b64 s[10:11], exec, s[10:11]
; %bb.1860:
	v_bfe_u32 v6, v3, 21, 1
	s_mov_b32 s12, 0x80fffff
	v_add3_u32 v6, v3, v6, s12
	v_lshrrev_b32_e32 v6, 21, v6
; %bb.1861:
	s_andn2_saveexec_b64 s[10:11], s[10:11]
; %bb.1862:
	s_mov_b32 s12, 0x43000000
	v_add_f32_e64 v6, |v3|, s12
; %bb.1863:
	s_or_b64 exec, exec, s[10:11]
                                        ; implicit-def: $vgpr7
.LBB8_1864:
	s_andn2_saveexec_b64 s[2:3], s[2:3]
; %bb.1865:
	s_mov_b32 s10, 0x7f800000
	v_mov_b32_e32 v6, 0x7c
	v_mov_b32_e32 v10, 0x7f
	v_cmp_lt_u32_e32 vcc, s10, v7
	v_cndmask_b32_e32 v6, v6, v10, vcc
; %bb.1866:
	s_or_b64 exec, exec, s[2:3]
	v_lshrrev_b32_e32 v3, 24, v3
	s_movk_i32 s2, 0x80
	v_and_or_b32 v3, v3, s2, v6
	global_store_byte v[0:1], v3, off
.LBB8_1867:
	s_mov_b64 s[2:3], 0
	s_mov_b64 s[10:11], -1
.LBB8_1868:
	s_andn2_b64 vcc, exec, s[2:3]
	s_mov_b64 s[2:3], 0
	s_cbranch_vccnz .LBB8_1875
; %bb.1869:
	s_cmp_gt_i32 s19, 14
	s_mov_b64 s[12:13], -1
	s_cbranch_scc0 .LBB8_1873
; %bb.1870:
	s_cmp_eq_u32 s19, 15
	s_mov_b64 s[0:1], -1
	s_cbranch_scc0 .LBB8_1872
; %bb.1871:
	v_cvt_f32_f64_e32 v3, v[4:5]
	s_movk_i32 s0, 0x7fff
	v_mov_b32_e32 v6, 0x7fc0
	s_mov_b64 s[10:11], -1
	v_bfe_u32 v7, v3, 16, 1
	v_cmp_o_f32_e32 vcc, v3, v3
	v_add3_u32 v3, v3, v7, s0
	v_cndmask_b32_sdwa v3, v6, v3, vcc dst_sel:DWORD dst_unused:UNUSED_PAD src0_sel:DWORD src1_sel:WORD_1
	global_store_short v[0:1], v3, off
	s_mov_b64 s[0:1], 0
.LBB8_1872:
	s_mov_b64 s[12:13], 0
.LBB8_1873:
	s_and_b64 vcc, exec, s[12:13]
	s_cbranch_vccz .LBB8_1875
; %bb.1874:
	s_cmp_lg_u32 s19, 11
	s_mov_b64 s[2:3], -1
	s_cselect_b64 s[0:1], -1, 0
.LBB8_1875:
	s_and_b64 vcc, exec, s[0:1]
	s_cbranch_vccnz .LBB8_2125
; %bb.1876:
	s_andn2_b64 vcc, exec, s[2:3]
	s_cbranch_vccnz .LBB8_1878
.LBB8_1877:
	v_cmp_neq_f64_e32 vcc, 0, v[4:5]
	s_mov_b64 s[10:11], -1
	v_cndmask_b32_e64 v3, 0, 1, vcc
	global_store_byte v[0:1], v3, off
.LBB8_1878:
	s_mov_b64 s[0:1], 0
	s_branch .LBB8_1880
.LBB8_1879:
	s_mov_b64 s[0:1], -1
	s_mov_b64 s[10:11], 0
.LBB8_1880:
	s_and_b64 vcc, exec, s[0:1]
	s_cbranch_vccz .LBB8_1919
; %bb.1881:
	s_and_b32 s2, 0xffff, s20
	s_cmp_lt_i32 s2, 5
	s_mov_b64 s[0:1], -1
	s_cbranch_scc1 .LBB8_1902
; %bb.1882:
	s_cmp_lt_i32 s2, 8
	s_cbranch_scc1 .LBB8_1892
; %bb.1883:
	s_cmp_lt_i32 s2, 9
	s_cbranch_scc1 .LBB8_1889
; %bb.1884:
	s_cmp_gt_i32 s2, 9
	s_cbranch_scc0 .LBB8_1886
; %bb.1885:
	v_mov_b32_e32 v6, 0
	v_mov_b32_e32 v7, v6
	global_store_dwordx4 v[0:1], v[4:7], off
	s_mov_b64 s[0:1], 0
.LBB8_1886:
	s_andn2_b64 vcc, exec, s[0:1]
	s_cbranch_vccnz .LBB8_1888
; %bb.1887:
	v_cvt_f32_f64_e32 v6, v[4:5]
	v_mov_b32_e32 v7, 0
	global_store_dwordx2 v[0:1], v[6:7], off
.LBB8_1888:
	s_mov_b64 s[0:1], 0
.LBB8_1889:
	s_andn2_b64 vcc, exec, s[0:1]
	s_cbranch_vccnz .LBB8_1891
; %bb.1890:
	s_movk_i32 s0, 0x1ff
	v_and_or_b32 v3, v5, s0, v4
	v_cmp_ne_u32_e32 vcc, 0, v3
	v_cndmask_b32_e64 v3, 0, 1, vcc
	v_lshrrev_b32_e32 v6, 8, v5
	s_movk_i32 s0, 0xffe
	v_bfe_u32 v7, v5, 20, 11
	v_and_or_b32 v3, v6, s0, v3
	v_sub_u32_e32 v10, 0x3f1, v7
	v_or_b32_e32 v6, 0x1000, v3
	v_med3_i32 v10, v10, 0, 13
	v_lshrrev_b32_e32 v11, v10, v6
	v_lshlrev_b32_e32 v10, v10, v11
	v_cmp_ne_u32_e32 vcc, v10, v6
	v_cndmask_b32_e64 v6, 0, 1, vcc
	v_add_u32_e32 v7, 0xfffffc10, v7
	v_or_b32_e32 v6, v11, v6
	v_lshl_or_b32 v10, v7, 12, v3
	v_cmp_gt_i32_e32 vcc, 1, v7
	v_cndmask_b32_e32 v6, v10, v6, vcc
	v_and_b32_e32 v10, 7, v6
	v_cmp_lt_i32_e32 vcc, 5, v10
	v_cndmask_b32_e64 v11, 0, 1, vcc
	v_cmp_eq_u32_e32 vcc, 3, v10
	v_cndmask_b32_e64 v10, 0, 1, vcc
	v_or_b32_e32 v10, v10, v11
	v_lshrrev_b32_e32 v6, 2, v6
	v_add_u32_e32 v6, v6, v10
	v_mov_b32_e32 v10, 0x7c00
	v_cmp_gt_i32_e32 vcc, 31, v7
	v_cndmask_b32_e32 v6, v10, v6, vcc
	v_mov_b32_e32 v11, 0x7e00
	v_cmp_ne_u32_e32 vcc, 0, v3
	s_movk_i32 s0, 0x40f
	v_cndmask_b32_e32 v3, v10, v11, vcc
	v_cmp_eq_u32_e32 vcc, s0, v7
	v_cndmask_b32_e32 v3, v6, v3, vcc
	v_lshrrev_b32_e32 v6, 16, v5
	s_mov_b32 s0, 0x8000
	v_and_or_b32 v3, v6, s0, v3
	v_and_b32_e32 v3, 0xffff, v3
	global_store_dword v[0:1], v3, off
.LBB8_1891:
	s_mov_b64 s[0:1], 0
.LBB8_1892:
	s_andn2_b64 vcc, exec, s[0:1]
	s_cbranch_vccnz .LBB8_1901
; %bb.1893:
	s_cmp_lt_i32 s2, 6
	s_mov_b64 s[0:1], -1
	s_cbranch_scc1 .LBB8_1899
; %bb.1894:
	s_cmp_gt_i32 s2, 6
	s_cbranch_scc0 .LBB8_1896
; %bb.1895:
	global_store_dwordx2 v[0:1], v[4:5], off
	s_mov_b64 s[0:1], 0
.LBB8_1896:
	s_andn2_b64 vcc, exec, s[0:1]
	s_cbranch_vccnz .LBB8_1898
; %bb.1897:
	v_cvt_f32_f64_e32 v3, v[4:5]
	global_store_dword v[0:1], v3, off
.LBB8_1898:
	s_mov_b64 s[0:1], 0
.LBB8_1899:
	s_andn2_b64 vcc, exec, s[0:1]
	s_cbranch_vccnz .LBB8_1901
; %bb.1900:
	s_movk_i32 s0, 0x1ff
	v_and_or_b32 v3, v5, s0, v4
	v_cmp_ne_u32_e32 vcc, 0, v3
	v_cndmask_b32_e64 v3, 0, 1, vcc
	v_lshrrev_b32_e32 v6, 8, v5
	s_movk_i32 s0, 0xffe
	v_bfe_u32 v7, v5, 20, 11
	v_and_or_b32 v3, v6, s0, v3
	v_sub_u32_e32 v10, 0x3f1, v7
	v_or_b32_e32 v6, 0x1000, v3
	v_med3_i32 v10, v10, 0, 13
	v_lshrrev_b32_e32 v11, v10, v6
	v_lshlrev_b32_e32 v10, v10, v11
	v_cmp_ne_u32_e32 vcc, v10, v6
	v_cndmask_b32_e64 v6, 0, 1, vcc
	v_add_u32_e32 v7, 0xfffffc10, v7
	v_or_b32_e32 v6, v11, v6
	v_lshl_or_b32 v10, v7, 12, v3
	v_cmp_gt_i32_e32 vcc, 1, v7
	v_cndmask_b32_e32 v6, v10, v6, vcc
	v_and_b32_e32 v10, 7, v6
	v_cmp_lt_i32_e32 vcc, 5, v10
	v_cndmask_b32_e64 v11, 0, 1, vcc
	v_cmp_eq_u32_e32 vcc, 3, v10
	v_cndmask_b32_e64 v10, 0, 1, vcc
	v_or_b32_e32 v10, v10, v11
	v_lshrrev_b32_e32 v6, 2, v6
	v_add_u32_e32 v6, v6, v10
	v_mov_b32_e32 v10, 0x7c00
	v_cmp_gt_i32_e32 vcc, 31, v7
	v_cndmask_b32_e32 v6, v10, v6, vcc
	v_mov_b32_e32 v11, 0x7e00
	v_cmp_ne_u32_e32 vcc, 0, v3
	s_movk_i32 s0, 0x40f
	v_cndmask_b32_e32 v3, v10, v11, vcc
	v_cmp_eq_u32_e32 vcc, s0, v7
	v_cndmask_b32_e32 v3, v6, v3, vcc
	v_lshrrev_b32_e32 v6, 16, v5
	s_mov_b32 s0, 0x8000
	v_and_or_b32 v3, v6, s0, v3
	global_store_short v[0:1], v3, off
.LBB8_1901:
	s_mov_b64 s[0:1], 0
.LBB8_1902:
	s_andn2_b64 vcc, exec, s[0:1]
	s_cbranch_vccnz .LBB8_1918
; %bb.1903:
	s_cmp_lt_i32 s2, 2
	s_mov_b64 s[0:1], -1
	s_cbranch_scc1 .LBB8_1913
; %bb.1904:
	s_cmp_lt_i32 s2, 3
	s_cbranch_scc1 .LBB8_1910
; %bb.1905:
	s_cmp_gt_i32 s2, 3
	s_cbranch_scc0 .LBB8_1907
; %bb.1906:
	v_trunc_f64_e32 v[6:7], v[4:5]
	s_movk_i32 s0, 0xffe0
	v_ldexp_f64 v[10:11], v[6:7], s0
	s_mov_b32 s0, 0
	s_mov_b32 s1, 0xc1f00000
	v_floor_f64_e32 v[10:11], v[10:11]
	v_fma_f64 v[6:7], v[10:11], s[0:1], v[6:7]
	v_cvt_i32_f64_e32 v11, v[10:11]
	s_mov_b64 s[0:1], 0
	v_cvt_u32_f64_e32 v10, v[6:7]
	global_store_dwordx2 v[0:1], v[10:11], off
.LBB8_1907:
	s_andn2_b64 vcc, exec, s[0:1]
	s_cbranch_vccnz .LBB8_1909
; %bb.1908:
	v_cvt_i32_f64_e32 v3, v[4:5]
	global_store_dword v[0:1], v3, off
.LBB8_1909:
	s_mov_b64 s[0:1], 0
.LBB8_1910:
	s_andn2_b64 vcc, exec, s[0:1]
	s_cbranch_vccnz .LBB8_1912
; %bb.1911:
	v_cvt_i32_f64_e32 v3, v[4:5]
	global_store_short v[0:1], v3, off
.LBB8_1912:
	s_mov_b64 s[0:1], 0
.LBB8_1913:
	s_andn2_b64 vcc, exec, s[0:1]
	s_cbranch_vccnz .LBB8_1918
; %bb.1914:
	s_cmp_gt_i32 s2, 0
	s_mov_b64 s[0:1], -1
	s_cbranch_scc0 .LBB8_1916
; %bb.1915:
	v_cvt_i32_f64_e32 v3, v[4:5]
	s_mov_b64 s[0:1], 0
	global_store_byte v[0:1], v3, off
.LBB8_1916:
	s_andn2_b64 vcc, exec, s[0:1]
	s_cbranch_vccnz .LBB8_1918
; %bb.1917:
	v_trunc_f64_e32 v[3:4], v[4:5]
	s_movk_i32 s0, 0xffe0
	v_ldexp_f64 v[5:6], v[3:4], s0
	s_mov_b32 s0, 0
	s_mov_b32 s1, 0xc1f00000
	v_floor_f64_e32 v[5:6], v[5:6]
	v_fma_f64 v[3:4], v[5:6], s[0:1], v[3:4]
	v_cvt_u32_f64_e32 v3, v[3:4]
	global_store_byte v[0:1], v3, off
.LBB8_1918:
	s_mov_b64 s[10:11], -1
.LBB8_1919:
	s_andn2_b64 vcc, exec, s[10:11]
	s_cbranch_vccnz .LBB8_2115
; %bb.1920:
	v_add_u32_e32 v2, s18, v2
	v_ashrrev_i32_e32 v1, 31, v2
	v_mov_b32_e32 v3, s9
	v_add_co_u32_e32 v0, vcc, s8, v2
	s_cmp_lt_i32 s20, 11
	v_addc_co_u32_e32 v1, vcc, v3, v1, vcc
	s_cbranch_scc1 .LBB8_1998
; %bb.1921:
	s_and_b32 s19, 0xffff, s20
	s_mov_b64 s[12:13], -1
	s_mov_b64 s[2:3], 0
	s_cmp_gt_i32 s19, 25
	s_mov_b64 s[10:11], 0
	s_mov_b64 s[0:1], 0
	s_cbranch_scc0 .LBB8_1954
; %bb.1922:
	s_cmp_gt_i32 s19, 28
	s_cbranch_scc0 .LBB8_1937
; %bb.1923:
	s_cmp_gt_i32 s19, 43
	s_cbranch_scc0 .LBB8_1933
; %bb.1924:
	s_cmp_gt_i32 s19, 45
	s_cbranch_scc0 .LBB8_1927
; %bb.1925:
	s_mov_b64 s[0:1], -1
	s_mov_b64 s[12:13], 0
	s_cmp_eq_u32 s19, 46
	s_cbranch_scc0 .LBB8_1927
; %bb.1926:
	v_cvt_f32_f64_e32 v3, v[8:9]
	s_movk_i32 s0, 0x7fff
	v_mov_b32_e32 v4, 0x7fc0
	s_mov_b64 s[10:11], -1
	v_bfe_u32 v5, v3, 16, 1
	v_cmp_o_f32_e32 vcc, v3, v3
	v_add3_u32 v3, v3, v5, s0
	v_cndmask_b32_sdwa v3, v4, v3, vcc dst_sel:DWORD dst_unused:UNUSED_PAD src0_sel:DWORD src1_sel:WORD_1
	global_store_dword v[0:1], v3, off
	s_mov_b64 s[0:1], 0
.LBB8_1927:
	s_and_b64 vcc, exec, s[12:13]
	s_cbranch_vccz .LBB8_1932
; %bb.1928:
	s_cmp_eq_u32 s19, 44
	s_mov_b64 s[0:1], -1
	s_cbranch_scc0 .LBB8_1932
; %bb.1929:
	v_cvt_f32_f64_e32 v3, v[8:9]
	s_movk_i32 s0, 0xff
	v_mov_b32_e32 v5, 0xff
	v_bfe_u32 v4, v3, 23, 8
	v_cmp_ne_u32_e32 vcc, s0, v4
	s_and_saveexec_b64 s[10:11], vcc
; %bb.1930:
	s_mov_b32 s0, 0x3fffff
	v_lshrrev_b32_e32 v5, 23, v3
	v_and_b32_e32 v6, 0x400000, v3
	v_and_or_b32 v3, v3, s0, v4
	v_cmp_ne_u32_e32 vcc, 0, v6
	v_cmp_ne_u32_e64 s[0:1], 0, v3
	s_and_b64 s[0:1], vcc, s[0:1]
	v_cndmask_b32_e64 v3, 0, 1, s[0:1]
	v_add_u32_e32 v5, v5, v3
; %bb.1931:
	s_or_b64 exec, exec, s[10:11]
	s_mov_b64 s[0:1], 0
	s_mov_b64 s[10:11], -1
	global_store_byte v[0:1], v5, off
.LBB8_1932:
	s_mov_b64 s[12:13], 0
.LBB8_1933:
	s_and_b64 vcc, exec, s[12:13]
	s_cbranch_vccz .LBB8_1936
; %bb.1934:
	s_cmp_eq_u32 s19, 29
	s_mov_b64 s[0:1], -1
	s_cbranch_scc0 .LBB8_1936
; %bb.1935:
	v_trunc_f64_e32 v[3:4], v[8:9]
	s_movk_i32 s0, 0xffe0
	s_mov_b64 s[10:11], -1
	v_ldexp_f64 v[5:6], v[3:4], s0
	s_mov_b32 s0, 0
	s_mov_b32 s1, 0xc1f00000
	v_floor_f64_e32 v[5:6], v[5:6]
	v_fma_f64 v[3:4], v[5:6], s[0:1], v[3:4]
	v_cvt_u32_f64_e32 v5, v[5:6]
	s_mov_b64 s[0:1], 0
	v_cvt_u32_f64_e32 v4, v[3:4]
	global_store_dwordx2 v[0:1], v[4:5], off
.LBB8_1936:
	s_mov_b64 s[12:13], 0
.LBB8_1937:
	s_and_b64 vcc, exec, s[12:13]
	s_cbranch_vccz .LBB8_1953
; %bb.1938:
	s_cmp_lt_i32 s19, 27
	s_mov_b64 s[10:11], -1
	s_cbranch_scc1 .LBB8_1944
; %bb.1939:
	v_cvt_u32_f64_e32 v3, v[8:9]
	s_cmp_gt_i32 s19, 27
	s_cbranch_scc0 .LBB8_1941
; %bb.1940:
	s_mov_b64 s[10:11], 0
	global_store_dword v[0:1], v3, off
.LBB8_1941:
	s_andn2_b64 vcc, exec, s[10:11]
	s_cbranch_vccnz .LBB8_1943
; %bb.1942:
	global_store_short v[0:1], v3, off
.LBB8_1943:
	s_mov_b64 s[10:11], 0
.LBB8_1944:
	s_andn2_b64 vcc, exec, s[10:11]
	s_cbranch_vccnz .LBB8_1952
; %bb.1945:
	v_cvt_f32_f64_e32 v3, v[8:9]
	s_mov_b32 s10, 0x43800000
	v_mov_b32_e32 v5, 0x80
	v_and_b32_e32 v4, 0x7fffffff, v3
	v_cmp_gt_u32_e32 vcc, s10, v4
	s_and_saveexec_b64 s[10:11], vcc
	s_cbranch_execz .LBB8_1951
; %bb.1946:
	s_mov_b32 s12, 0x3bffffff
	v_cmp_lt_u32_e32 vcc, s12, v4
	s_mov_b64 s[12:13], 0
                                        ; implicit-def: $vgpr4
	s_and_saveexec_b64 s[16:17], vcc
	s_xor_b64 s[16:17], exec, s[16:17]
	s_cbranch_execz .LBB8_2128
; %bb.1947:
	v_bfe_u32 v4, v3, 20, 1
	s_mov_b32 s21, 0x487ffff
	v_add3_u32 v4, v3, v4, s21
	s_mov_b64 s[12:13], exec
	v_lshrrev_b32_e32 v4, 20, v4
	s_andn2_saveexec_b64 s[16:17], s[16:17]
	s_cbranch_execnz .LBB8_2129
.LBB8_1948:
	s_or_b64 exec, exec, s[16:17]
	v_mov_b32_e32 v5, 0
	s_and_saveexec_b64 s[16:17], s[12:13]
.LBB8_1949:
	v_lshrrev_b32_e32 v3, 24, v3
	s_movk_i32 s12, 0x80
	v_and_or_b32 v5, v3, s12, v4
.LBB8_1950:
	s_or_b64 exec, exec, s[16:17]
.LBB8_1951:
	s_or_b64 exec, exec, s[10:11]
	global_store_byte v[0:1], v5, off
.LBB8_1952:
	s_mov_b64 s[10:11], -1
.LBB8_1953:
	s_mov_b64 s[12:13], 0
.LBB8_1954:
	s_and_b64 vcc, exec, s[12:13]
	s_cbranch_vccz .LBB8_1994
; %bb.1955:
	s_cmp_gt_i32 s19, 22
	s_mov_b64 s[2:3], -1
	s_cbranch_scc0 .LBB8_1987
; %bb.1956:
	s_cmp_lt_i32 s19, 24
	s_cbranch_scc1 .LBB8_1976
; %bb.1957:
	s_cmp_gt_i32 s19, 24
	s_cbranch_scc0 .LBB8_1965
; %bb.1958:
	v_cvt_f32_f64_e32 v3, v[8:9]
	s_mov_b32 s2, 0x47800000
	v_mov_b32_e32 v5, 0x80
	v_and_b32_e32 v4, 0x7fffffff, v3
	v_cmp_gt_u32_e32 vcc, s2, v4
	s_and_saveexec_b64 s[2:3], vcc
	s_cbranch_execz .LBB8_1964
; %bb.1959:
	s_mov_b32 s10, 0x37ffffff
	v_cmp_lt_u32_e32 vcc, s10, v4
	s_mov_b64 s[10:11], 0
                                        ; implicit-def: $vgpr4
	s_and_saveexec_b64 s[12:13], vcc
	s_xor_b64 s[12:13], exec, s[12:13]
	s_cbranch_execz .LBB8_2131
; %bb.1960:
	v_bfe_u32 v4, v3, 21, 1
	s_mov_b32 s16, 0x88fffff
	v_add3_u32 v4, v3, v4, s16
	s_mov_b64 s[10:11], exec
	v_lshrrev_b32_e32 v4, 21, v4
	s_andn2_saveexec_b64 s[12:13], s[12:13]
	s_cbranch_execnz .LBB8_2132
.LBB8_1961:
	s_or_b64 exec, exec, s[12:13]
	v_mov_b32_e32 v5, 0
	s_and_saveexec_b64 s[12:13], s[10:11]
.LBB8_1962:
	v_lshrrev_b32_e32 v3, 24, v3
	s_movk_i32 s10, 0x80
	v_and_or_b32 v5, v3, s10, v4
.LBB8_1963:
	s_or_b64 exec, exec, s[12:13]
.LBB8_1964:
	s_or_b64 exec, exec, s[2:3]
	s_mov_b64 s[2:3], 0
	global_store_byte v[0:1], v5, off
.LBB8_1965:
	s_and_b64 vcc, exec, s[2:3]
	s_cbranch_vccz .LBB8_1975
; %bb.1966:
	v_cvt_f32_f64_e32 v3, v[8:9]
	s_mov_b32 s2, 0x43f00000
                                        ; implicit-def: $vgpr4
	v_and_b32_e32 v5, 0x7fffffff, v3
	v_cmp_gt_u32_e32 vcc, s2, v5
	s_and_saveexec_b64 s[2:3], vcc
	s_xor_b64 s[2:3], exec, s[2:3]
	s_cbranch_execz .LBB8_1972
; %bb.1967:
	s_mov_b32 s10, 0x3c7fffff
	v_cmp_lt_u32_e32 vcc, s10, v5
                                        ; implicit-def: $vgpr4
	s_and_saveexec_b64 s[10:11], vcc
	s_xor_b64 s[10:11], exec, s[10:11]
; %bb.1968:
	v_bfe_u32 v4, v3, 20, 1
	s_mov_b32 s12, 0x407ffff
	v_add3_u32 v4, v3, v4, s12
	v_lshrrev_b32_e32 v5, 20, v4
	v_and_b32_e32 v4, 0xff00000, v4
	s_mov_b32 s12, 0x7f00000
	v_mov_b32_e32 v6, 0x7e
	v_cmp_ne_u32_e32 vcc, s12, v4
	v_cndmask_b32_e32 v4, v6, v5, vcc
; %bb.1969:
	s_andn2_saveexec_b64 s[10:11], s[10:11]
; %bb.1970:
	s_mov_b32 s12, 0x46800000
	v_add_f32_e64 v4, |v3|, s12
; %bb.1971:
	s_or_b64 exec, exec, s[10:11]
                                        ; implicit-def: $vgpr5
.LBB8_1972:
	s_andn2_saveexec_b64 s[2:3], s[2:3]
; %bb.1973:
	s_mov_b32 s10, 0x7f800000
	v_mov_b32_e32 v4, 0x7e
	v_mov_b32_e32 v6, 0x7f
	v_cmp_lt_u32_e32 vcc, s10, v5
	v_cndmask_b32_e32 v4, v4, v6, vcc
; %bb.1974:
	s_or_b64 exec, exec, s[2:3]
	v_lshrrev_b32_e32 v3, 24, v3
	s_movk_i32 s2, 0x80
	v_and_or_b32 v3, v3, s2, v4
	global_store_byte v[0:1], v3, off
.LBB8_1975:
	s_mov_b64 s[2:3], 0
.LBB8_1976:
	s_andn2_b64 vcc, exec, s[2:3]
	s_cbranch_vccnz .LBB8_1986
; %bb.1977:
	v_cvt_f32_f64_e32 v3, v[8:9]
	s_mov_b32 s2, 0x47800000
                                        ; implicit-def: $vgpr4
	v_and_b32_e32 v5, 0x7fffffff, v3
	v_cmp_gt_u32_e32 vcc, s2, v5
	s_and_saveexec_b64 s[2:3], vcc
	s_xor_b64 s[2:3], exec, s[2:3]
	s_cbranch_execz .LBB8_1983
; %bb.1978:
	s_mov_b32 s10, 0x387fffff
	v_cmp_lt_u32_e32 vcc, s10, v5
                                        ; implicit-def: $vgpr4
	s_and_saveexec_b64 s[10:11], vcc
	s_xor_b64 s[10:11], exec, s[10:11]
; %bb.1979:
	v_bfe_u32 v4, v3, 21, 1
	s_mov_b32 s12, 0x80fffff
	v_add3_u32 v4, v3, v4, s12
	v_lshrrev_b32_e32 v4, 21, v4
; %bb.1980:
	s_andn2_saveexec_b64 s[10:11], s[10:11]
; %bb.1981:
	s_mov_b32 s12, 0x43000000
	v_add_f32_e64 v4, |v3|, s12
; %bb.1982:
	s_or_b64 exec, exec, s[10:11]
                                        ; implicit-def: $vgpr5
.LBB8_1983:
	s_andn2_saveexec_b64 s[2:3], s[2:3]
; %bb.1984:
	s_mov_b32 s10, 0x7f800000
	v_mov_b32_e32 v4, 0x7c
	v_mov_b32_e32 v6, 0x7f
	v_cmp_lt_u32_e32 vcc, s10, v5
	v_cndmask_b32_e32 v4, v4, v6, vcc
; %bb.1985:
	s_or_b64 exec, exec, s[2:3]
	v_lshrrev_b32_e32 v3, 24, v3
	s_movk_i32 s2, 0x80
	v_and_or_b32 v3, v3, s2, v4
	global_store_byte v[0:1], v3, off
.LBB8_1986:
	s_mov_b64 s[2:3], 0
	s_mov_b64 s[10:11], -1
.LBB8_1987:
	s_andn2_b64 vcc, exec, s[2:3]
	s_mov_b64 s[2:3], 0
	s_cbranch_vccnz .LBB8_1994
; %bb.1988:
	s_cmp_gt_i32 s19, 14
	s_mov_b64 s[12:13], -1
	s_cbranch_scc0 .LBB8_1992
; %bb.1989:
	s_cmp_eq_u32 s19, 15
	s_mov_b64 s[0:1], -1
	s_cbranch_scc0 .LBB8_1991
; %bb.1990:
	v_cvt_f32_f64_e32 v3, v[8:9]
	s_movk_i32 s0, 0x7fff
	v_mov_b32_e32 v4, 0x7fc0
	s_mov_b64 s[10:11], -1
	v_bfe_u32 v5, v3, 16, 1
	v_cmp_o_f32_e32 vcc, v3, v3
	v_add3_u32 v3, v3, v5, s0
	v_cndmask_b32_sdwa v3, v4, v3, vcc dst_sel:DWORD dst_unused:UNUSED_PAD src0_sel:DWORD src1_sel:WORD_1
	global_store_short v[0:1], v3, off
	s_mov_b64 s[0:1], 0
.LBB8_1991:
	s_mov_b64 s[12:13], 0
.LBB8_1992:
	s_and_b64 vcc, exec, s[12:13]
	s_cbranch_vccz .LBB8_1994
; %bb.1993:
	s_cmp_lg_u32 s19, 11
	s_mov_b64 s[2:3], -1
	s_cselect_b64 s[0:1], -1, 0
.LBB8_1994:
	s_and_b64 vcc, exec, s[0:1]
	s_cbranch_vccnz .LBB8_2130
; %bb.1995:
	s_andn2_b64 vcc, exec, s[2:3]
	s_cbranch_vccnz .LBB8_1997
.LBB8_1996:
	v_cmp_neq_f64_e32 vcc, 0, v[8:9]
	s_mov_b64 s[10:11], -1
	v_cndmask_b32_e64 v3, 0, 1, vcc
	global_store_byte v[0:1], v3, off
.LBB8_1997:
	s_mov_b64 s[0:1], 0
	s_branch .LBB8_1999
.LBB8_1998:
	s_mov_b64 s[0:1], -1
	s_mov_b64 s[10:11], 0
.LBB8_1999:
	s_and_b64 vcc, exec, s[0:1]
	s_cbranch_vccz .LBB8_2038
; %bb.2000:
	s_and_b32 s2, 0xffff, s20
	s_cmp_lt_i32 s2, 5
	s_mov_b64 s[0:1], -1
	s_cbranch_scc1 .LBB8_2021
; %bb.2001:
	s_cmp_lt_i32 s2, 8
	s_cbranch_scc1 .LBB8_2011
; %bb.2002:
	s_cmp_lt_i32 s2, 9
	s_cbranch_scc1 .LBB8_2008
; %bb.2003:
	s_cmp_gt_i32 s2, 9
	s_cbranch_scc0 .LBB8_2005
; %bb.2004:
	v_mov_b32_e32 v10, 0
	v_mov_b32_e32 v11, v10
	global_store_dwordx4 v[0:1], v[8:11], off
	s_mov_b64 s[0:1], 0
.LBB8_2005:
	s_andn2_b64 vcc, exec, s[0:1]
	s_cbranch_vccnz .LBB8_2007
; %bb.2006:
	v_cvt_f32_f64_e32 v3, v[8:9]
	v_mov_b32_e32 v4, 0
	global_store_dwordx2 v[0:1], v[3:4], off
.LBB8_2007:
	s_mov_b64 s[0:1], 0
.LBB8_2008:
	s_andn2_b64 vcc, exec, s[0:1]
	s_cbranch_vccnz .LBB8_2010
; %bb.2009:
	s_movk_i32 s0, 0x1ff
	v_and_or_b32 v3, v9, s0, v8
	v_cmp_ne_u32_e32 vcc, 0, v3
	v_cndmask_b32_e64 v3, 0, 1, vcc
	v_lshrrev_b32_e32 v4, 8, v9
	s_movk_i32 s0, 0xffe
	v_bfe_u32 v5, v9, 20, 11
	v_and_or_b32 v3, v4, s0, v3
	v_sub_u32_e32 v6, 0x3f1, v5
	v_or_b32_e32 v4, 0x1000, v3
	v_med3_i32 v6, v6, 0, 13
	v_lshrrev_b32_e32 v7, v6, v4
	v_lshlrev_b32_e32 v6, v6, v7
	v_cmp_ne_u32_e32 vcc, v6, v4
	v_cndmask_b32_e64 v4, 0, 1, vcc
	v_add_u32_e32 v5, 0xfffffc10, v5
	v_or_b32_e32 v4, v7, v4
	v_lshl_or_b32 v6, v5, 12, v3
	v_cmp_gt_i32_e32 vcc, 1, v5
	v_cndmask_b32_e32 v4, v6, v4, vcc
	v_and_b32_e32 v6, 7, v4
	v_cmp_lt_i32_e32 vcc, 5, v6
	v_cndmask_b32_e64 v7, 0, 1, vcc
	v_cmp_eq_u32_e32 vcc, 3, v6
	v_cndmask_b32_e64 v6, 0, 1, vcc
	v_or_b32_e32 v6, v6, v7
	v_lshrrev_b32_e32 v4, 2, v4
	v_add_u32_e32 v4, v4, v6
	v_mov_b32_e32 v6, 0x7c00
	v_cmp_gt_i32_e32 vcc, 31, v5
	v_cndmask_b32_e32 v4, v6, v4, vcc
	v_mov_b32_e32 v7, 0x7e00
	v_cmp_ne_u32_e32 vcc, 0, v3
	s_movk_i32 s0, 0x40f
	v_cndmask_b32_e32 v3, v6, v7, vcc
	v_cmp_eq_u32_e32 vcc, s0, v5
	v_cndmask_b32_e32 v3, v4, v3, vcc
	v_lshrrev_b32_e32 v4, 16, v9
	s_mov_b32 s0, 0x8000
	v_and_or_b32 v3, v4, s0, v3
	v_and_b32_e32 v3, 0xffff, v3
	global_store_dword v[0:1], v3, off
.LBB8_2010:
	s_mov_b64 s[0:1], 0
.LBB8_2011:
	s_andn2_b64 vcc, exec, s[0:1]
	s_cbranch_vccnz .LBB8_2020
; %bb.2012:
	s_cmp_lt_i32 s2, 6
	s_mov_b64 s[0:1], -1
	s_cbranch_scc1 .LBB8_2018
; %bb.2013:
	s_cmp_gt_i32 s2, 6
	s_cbranch_scc0 .LBB8_2015
; %bb.2014:
	global_store_dwordx2 v[0:1], v[8:9], off
	s_mov_b64 s[0:1], 0
.LBB8_2015:
	s_andn2_b64 vcc, exec, s[0:1]
	s_cbranch_vccnz .LBB8_2017
; %bb.2016:
	v_cvt_f32_f64_e32 v3, v[8:9]
	global_store_dword v[0:1], v3, off
.LBB8_2017:
	s_mov_b64 s[0:1], 0
.LBB8_2018:
	s_andn2_b64 vcc, exec, s[0:1]
	s_cbranch_vccnz .LBB8_2020
; %bb.2019:
	s_movk_i32 s0, 0x1ff
	v_and_or_b32 v3, v9, s0, v8
	v_cmp_ne_u32_e32 vcc, 0, v3
	v_cndmask_b32_e64 v3, 0, 1, vcc
	v_lshrrev_b32_e32 v4, 8, v9
	s_movk_i32 s0, 0xffe
	v_bfe_u32 v5, v9, 20, 11
	v_and_or_b32 v3, v4, s0, v3
	v_sub_u32_e32 v6, 0x3f1, v5
	v_or_b32_e32 v4, 0x1000, v3
	v_med3_i32 v6, v6, 0, 13
	v_lshrrev_b32_e32 v7, v6, v4
	v_lshlrev_b32_e32 v6, v6, v7
	v_cmp_ne_u32_e32 vcc, v6, v4
	v_cndmask_b32_e64 v4, 0, 1, vcc
	v_add_u32_e32 v5, 0xfffffc10, v5
	v_or_b32_e32 v4, v7, v4
	v_lshl_or_b32 v6, v5, 12, v3
	v_cmp_gt_i32_e32 vcc, 1, v5
	v_cndmask_b32_e32 v4, v6, v4, vcc
	v_and_b32_e32 v6, 7, v4
	v_cmp_lt_i32_e32 vcc, 5, v6
	v_cndmask_b32_e64 v7, 0, 1, vcc
	v_cmp_eq_u32_e32 vcc, 3, v6
	v_cndmask_b32_e64 v6, 0, 1, vcc
	v_or_b32_e32 v6, v6, v7
	v_lshrrev_b32_e32 v4, 2, v4
	v_add_u32_e32 v4, v4, v6
	v_mov_b32_e32 v6, 0x7c00
	v_cmp_gt_i32_e32 vcc, 31, v5
	v_cndmask_b32_e32 v4, v6, v4, vcc
	v_mov_b32_e32 v7, 0x7e00
	v_cmp_ne_u32_e32 vcc, 0, v3
	s_movk_i32 s0, 0x40f
	v_cndmask_b32_e32 v3, v6, v7, vcc
	v_cmp_eq_u32_e32 vcc, s0, v5
	v_cndmask_b32_e32 v3, v4, v3, vcc
	v_lshrrev_b32_e32 v4, 16, v9
	s_mov_b32 s0, 0x8000
	v_and_or_b32 v3, v4, s0, v3
	global_store_short v[0:1], v3, off
.LBB8_2020:
	s_mov_b64 s[0:1], 0
.LBB8_2021:
	s_andn2_b64 vcc, exec, s[0:1]
	s_cbranch_vccnz .LBB8_2037
; %bb.2022:
	s_cmp_lt_i32 s2, 2
	s_mov_b64 s[0:1], -1
	s_cbranch_scc1 .LBB8_2032
; %bb.2023:
	s_cmp_lt_i32 s2, 3
	s_cbranch_scc1 .LBB8_2029
; %bb.2024:
	s_cmp_gt_i32 s2, 3
	s_cbranch_scc0 .LBB8_2026
; %bb.2025:
	v_trunc_f64_e32 v[3:4], v[8:9]
	s_movk_i32 s0, 0xffe0
	v_ldexp_f64 v[5:6], v[3:4], s0
	s_mov_b32 s0, 0
	s_mov_b32 s1, 0xc1f00000
	v_floor_f64_e32 v[5:6], v[5:6]
	v_fma_f64 v[3:4], v[5:6], s[0:1], v[3:4]
	v_cvt_i32_f64_e32 v5, v[5:6]
	s_mov_b64 s[0:1], 0
	v_cvt_u32_f64_e32 v4, v[3:4]
	global_store_dwordx2 v[0:1], v[4:5], off
.LBB8_2026:
	s_andn2_b64 vcc, exec, s[0:1]
	s_cbranch_vccnz .LBB8_2028
; %bb.2027:
	v_cvt_i32_f64_e32 v3, v[8:9]
	global_store_dword v[0:1], v3, off
.LBB8_2028:
	s_mov_b64 s[0:1], 0
.LBB8_2029:
	s_andn2_b64 vcc, exec, s[0:1]
	s_cbranch_vccnz .LBB8_2031
; %bb.2030:
	v_cvt_i32_f64_e32 v3, v[8:9]
	global_store_short v[0:1], v3, off
.LBB8_2031:
	s_mov_b64 s[0:1], 0
.LBB8_2032:
	s_andn2_b64 vcc, exec, s[0:1]
	s_cbranch_vccnz .LBB8_2037
; %bb.2033:
	s_cmp_gt_i32 s2, 0
	s_mov_b64 s[0:1], -1
	s_cbranch_scc0 .LBB8_2035
; %bb.2034:
	v_cvt_i32_f64_e32 v3, v[8:9]
	s_mov_b64 s[0:1], 0
	global_store_byte v[0:1], v3, off
.LBB8_2035:
	s_andn2_b64 vcc, exec, s[0:1]
	s_cbranch_vccnz .LBB8_2037
; %bb.2036:
	v_trunc_f64_e32 v[3:4], v[8:9]
	s_movk_i32 s0, 0xffe0
	v_ldexp_f64 v[5:6], v[3:4], s0
	s_mov_b32 s0, 0
	s_mov_b32 s1, 0xc1f00000
	v_floor_f64_e32 v[5:6], v[5:6]
	v_fma_f64 v[3:4], v[5:6], s[0:1], v[3:4]
	v_cvt_u32_f64_e32 v3, v[3:4]
	global_store_byte v[0:1], v3, off
.LBB8_2037:
	s_mov_b64 s[10:11], -1
.LBB8_2038:
	s_andn2_b64 vcc, exec, s[10:11]
	s_cbranch_vccnz .LBB8_2115
; %bb.2039:
	v_add_u32_e32 v0, s18, v2
	v_ashrrev_i32_e32 v1, 31, v0
	v_mov_b32_e32 v2, s9
	v_add_co_u32_e32 v0, vcc, s8, v0
	s_cmp_lt_i32 s20, 11
	v_addc_co_u32_e32 v1, vcc, v2, v1, vcc
	s_cbranch_scc1 .LBB8_2116
; %bb.2040:
	s_and_b32 s16, 0xffff, s20
	s_mov_b64 s[8:9], -1
	s_mov_b64 s[2:3], 0
	s_cmp_gt_i32 s16, 25
	s_mov_b64 s[0:1], 0
	s_cbranch_scc0 .LBB8_2073
; %bb.2041:
	s_cmp_gt_i32 s16, 28
	s_cbranch_scc0 .LBB8_2057
; %bb.2042:
	s_cmp_gt_i32 s16, 43
	;; [unrolled: 3-line block ×3, first 2 shown]
	s_cbranch_scc0 .LBB8_2047
; %bb.2044:
	s_cmp_eq_u32 s16, 46
	s_mov_b64 s[0:1], -1
	s_cbranch_scc0 .LBB8_2046
; %bb.2045:
	v_cvt_f32_f64_e32 v2, v[12:13]
	s_movk_i32 s0, 0x7fff
	v_mov_b32_e32 v3, 0x7fc0
	v_bfe_u32 v4, v2, 16, 1
	v_cmp_o_f32_e32 vcc, v2, v2
	v_add3_u32 v2, v2, v4, s0
	v_cndmask_b32_sdwa v2, v3, v2, vcc dst_sel:DWORD dst_unused:UNUSED_PAD src0_sel:DWORD src1_sel:WORD_1
	global_store_dword v[0:1], v2, off
	s_mov_b64 s[0:1], 0
.LBB8_2046:
	s_mov_b64 s[8:9], 0
.LBB8_2047:
	s_and_b64 vcc, exec, s[8:9]
	s_cbranch_vccz .LBB8_2052
; %bb.2048:
	s_cmp_eq_u32 s16, 44
	s_mov_b64 s[0:1], -1
	s_cbranch_scc0 .LBB8_2052
; %bb.2049:
	v_cvt_f32_f64_e32 v2, v[12:13]
	s_movk_i32 s0, 0xff
	v_mov_b32_e32 v4, 0xff
	v_bfe_u32 v3, v2, 23, 8
	v_cmp_ne_u32_e32 vcc, s0, v3
	s_and_saveexec_b64 s[8:9], vcc
; %bb.2050:
	s_mov_b32 s0, 0x3fffff
	v_lshrrev_b32_e32 v4, 23, v2
	v_and_b32_e32 v5, 0x400000, v2
	v_and_or_b32 v2, v2, s0, v3
	v_cmp_ne_u32_e32 vcc, 0, v5
	v_cmp_ne_u32_e64 s[0:1], 0, v2
	s_and_b64 s[0:1], vcc, s[0:1]
	v_cndmask_b32_e64 v2, 0, 1, s[0:1]
	v_add_u32_e32 v4, v4, v2
; %bb.2051:
	s_or_b64 exec, exec, s[8:9]
	s_mov_b64 s[0:1], 0
	global_store_byte v[0:1], v4, off
.LBB8_2052:
	s_mov_b64 s[8:9], 0
.LBB8_2053:
	s_and_b64 vcc, exec, s[8:9]
	s_cbranch_vccz .LBB8_2056
; %bb.2054:
	s_cmp_eq_u32 s16, 29
	s_mov_b64 s[0:1], -1
	s_cbranch_scc0 .LBB8_2056
; %bb.2055:
	v_trunc_f64_e32 v[2:3], v[12:13]
	s_movk_i32 s0, 0xffe0
	v_ldexp_f64 v[4:5], v[2:3], s0
	s_mov_b32 s0, 0
	s_mov_b32 s1, 0xc1f00000
	v_floor_f64_e32 v[4:5], v[4:5]
	v_fma_f64 v[2:3], v[4:5], s[0:1], v[2:3]
	v_cvt_u32_f64_e32 v4, v[4:5]
	s_mov_b64 s[0:1], 0
	v_cvt_u32_f64_e32 v3, v[2:3]
	global_store_dwordx2 v[0:1], v[3:4], off
.LBB8_2056:
	s_mov_b64 s[8:9], 0
.LBB8_2057:
	s_and_b64 vcc, exec, s[8:9]
	s_cbranch_vccz .LBB8_2072
; %bb.2058:
	s_cmp_lt_i32 s16, 27
	s_mov_b64 s[8:9], -1
	s_cbranch_scc1 .LBB8_2064
; %bb.2059:
	v_cvt_u32_f64_e32 v2, v[12:13]
	s_cmp_gt_i32 s16, 27
	s_cbranch_scc0 .LBB8_2061
; %bb.2060:
	global_store_dword v[0:1], v2, off
	s_mov_b64 s[8:9], 0
.LBB8_2061:
	s_andn2_b64 vcc, exec, s[8:9]
	s_cbranch_vccnz .LBB8_2063
; %bb.2062:
	global_store_short v[0:1], v2, off
.LBB8_2063:
	s_mov_b64 s[8:9], 0
.LBB8_2064:
	s_andn2_b64 vcc, exec, s[8:9]
	s_cbranch_vccnz .LBB8_2072
; %bb.2065:
	v_cvt_f32_f64_e32 v2, v[12:13]
	s_mov_b32 s8, 0x43800000
	v_mov_b32_e32 v4, 0x80
	v_and_b32_e32 v3, 0x7fffffff, v2
	v_cmp_gt_u32_e32 vcc, s8, v3
	s_and_saveexec_b64 s[8:9], vcc
	s_cbranch_execz .LBB8_2071
; %bb.2066:
	s_mov_b32 s10, 0x3bffffff
	v_cmp_lt_u32_e32 vcc, s10, v3
	s_mov_b64 s[10:11], 0
                                        ; implicit-def: $vgpr3
	s_and_saveexec_b64 s[12:13], vcc
	s_xor_b64 s[12:13], exec, s[12:13]
	s_cbranch_execz .LBB8_2133
; %bb.2067:
	v_bfe_u32 v3, v2, 20, 1
	s_mov_b32 s17, 0x487ffff
	v_add3_u32 v3, v2, v3, s17
	s_mov_b64 s[10:11], exec
	v_lshrrev_b32_e32 v3, 20, v3
	s_andn2_saveexec_b64 s[12:13], s[12:13]
	s_cbranch_execnz .LBB8_2134
.LBB8_2068:
	s_or_b64 exec, exec, s[12:13]
	v_mov_b32_e32 v4, 0
	s_and_saveexec_b64 s[12:13], s[10:11]
.LBB8_2069:
	v_lshrrev_b32_e32 v2, 24, v2
	s_movk_i32 s10, 0x80
	v_and_or_b32 v4, v2, s10, v3
.LBB8_2070:
	s_or_b64 exec, exec, s[12:13]
.LBB8_2071:
	s_or_b64 exec, exec, s[8:9]
	global_store_byte v[0:1], v4, off
.LBB8_2072:
	s_mov_b64 s[8:9], 0
.LBB8_2073:
	s_and_b64 vcc, exec, s[8:9]
	s_cbranch_vccz .LBB8_2113
; %bb.2074:
	s_cmp_gt_i32 s16, 22
	s_mov_b64 s[2:3], -1
	s_cbranch_scc0 .LBB8_2106
; %bb.2075:
	s_cmp_lt_i32 s16, 24
	s_cbranch_scc1 .LBB8_2095
; %bb.2076:
	s_cmp_gt_i32 s16, 24
	s_cbranch_scc0 .LBB8_2084
; %bb.2077:
	v_cvt_f32_f64_e32 v2, v[12:13]
	s_mov_b32 s2, 0x47800000
	v_mov_b32_e32 v4, 0x80
	v_and_b32_e32 v3, 0x7fffffff, v2
	v_cmp_gt_u32_e32 vcc, s2, v3
	s_and_saveexec_b64 s[2:3], vcc
	s_cbranch_execz .LBB8_2083
; %bb.2078:
	s_mov_b32 s8, 0x37ffffff
	v_cmp_lt_u32_e32 vcc, s8, v3
	s_mov_b64 s[8:9], 0
                                        ; implicit-def: $vgpr3
	s_and_saveexec_b64 s[10:11], vcc
	s_xor_b64 s[10:11], exec, s[10:11]
	s_cbranch_execz .LBB8_2136
; %bb.2079:
	v_bfe_u32 v3, v2, 21, 1
	s_mov_b32 s12, 0x88fffff
	v_add3_u32 v3, v2, v3, s12
	s_mov_b64 s[8:9], exec
	v_lshrrev_b32_e32 v3, 21, v3
	s_andn2_saveexec_b64 s[10:11], s[10:11]
	s_cbranch_execnz .LBB8_2137
.LBB8_2080:
	s_or_b64 exec, exec, s[10:11]
	v_mov_b32_e32 v4, 0
	s_and_saveexec_b64 s[10:11], s[8:9]
.LBB8_2081:
	v_lshrrev_b32_e32 v2, 24, v2
	s_movk_i32 s8, 0x80
	v_and_or_b32 v4, v2, s8, v3
.LBB8_2082:
	s_or_b64 exec, exec, s[10:11]
.LBB8_2083:
	s_or_b64 exec, exec, s[2:3]
	s_mov_b64 s[2:3], 0
	global_store_byte v[0:1], v4, off
.LBB8_2084:
	s_and_b64 vcc, exec, s[2:3]
	s_cbranch_vccz .LBB8_2094
; %bb.2085:
	v_cvt_f32_f64_e32 v2, v[12:13]
	s_mov_b32 s2, 0x43f00000
                                        ; implicit-def: $vgpr3
	v_and_b32_e32 v4, 0x7fffffff, v2
	v_cmp_gt_u32_e32 vcc, s2, v4
	s_and_saveexec_b64 s[2:3], vcc
	s_xor_b64 s[2:3], exec, s[2:3]
	s_cbranch_execz .LBB8_2091
; %bb.2086:
	s_mov_b32 s8, 0x3c7fffff
	v_cmp_lt_u32_e32 vcc, s8, v4
                                        ; implicit-def: $vgpr3
	s_and_saveexec_b64 s[8:9], vcc
	s_xor_b64 s[8:9], exec, s[8:9]
; %bb.2087:
	v_bfe_u32 v3, v2, 20, 1
	s_mov_b32 s10, 0x407ffff
	v_add3_u32 v3, v2, v3, s10
	v_lshrrev_b32_e32 v4, 20, v3
	v_and_b32_e32 v3, 0xff00000, v3
	s_mov_b32 s10, 0x7f00000
	v_mov_b32_e32 v5, 0x7e
	v_cmp_ne_u32_e32 vcc, s10, v3
	v_cndmask_b32_e32 v3, v5, v4, vcc
; %bb.2088:
	s_andn2_saveexec_b64 s[8:9], s[8:9]
; %bb.2089:
	s_mov_b32 s10, 0x46800000
	v_add_f32_e64 v3, |v2|, s10
; %bb.2090:
	s_or_b64 exec, exec, s[8:9]
                                        ; implicit-def: $vgpr4
.LBB8_2091:
	s_andn2_saveexec_b64 s[2:3], s[2:3]
; %bb.2092:
	s_mov_b32 s8, 0x7f800000
	v_mov_b32_e32 v3, 0x7e
	v_mov_b32_e32 v5, 0x7f
	v_cmp_lt_u32_e32 vcc, s8, v4
	v_cndmask_b32_e32 v3, v3, v5, vcc
; %bb.2093:
	s_or_b64 exec, exec, s[2:3]
	v_lshrrev_b32_e32 v2, 24, v2
	s_movk_i32 s2, 0x80
	v_and_or_b32 v2, v2, s2, v3
	global_store_byte v[0:1], v2, off
.LBB8_2094:
	s_mov_b64 s[2:3], 0
.LBB8_2095:
	s_andn2_b64 vcc, exec, s[2:3]
	s_cbranch_vccnz .LBB8_2105
; %bb.2096:
	v_cvt_f32_f64_e32 v2, v[12:13]
	s_mov_b32 s2, 0x47800000
                                        ; implicit-def: $vgpr3
	v_and_b32_e32 v4, 0x7fffffff, v2
	v_cmp_gt_u32_e32 vcc, s2, v4
	s_and_saveexec_b64 s[2:3], vcc
	s_xor_b64 s[2:3], exec, s[2:3]
	s_cbranch_execz .LBB8_2102
; %bb.2097:
	s_mov_b32 s8, 0x387fffff
	v_cmp_lt_u32_e32 vcc, s8, v4
                                        ; implicit-def: $vgpr3
	s_and_saveexec_b64 s[8:9], vcc
	s_xor_b64 s[8:9], exec, s[8:9]
; %bb.2098:
	v_bfe_u32 v3, v2, 21, 1
	s_mov_b32 s10, 0x80fffff
	v_add3_u32 v3, v2, v3, s10
	v_lshrrev_b32_e32 v3, 21, v3
; %bb.2099:
	s_andn2_saveexec_b64 s[8:9], s[8:9]
; %bb.2100:
	s_mov_b32 s10, 0x43000000
	v_add_f32_e64 v3, |v2|, s10
; %bb.2101:
	s_or_b64 exec, exec, s[8:9]
                                        ; implicit-def: $vgpr4
.LBB8_2102:
	s_andn2_saveexec_b64 s[2:3], s[2:3]
; %bb.2103:
	s_mov_b32 s8, 0x7f800000
	v_mov_b32_e32 v3, 0x7c
	v_mov_b32_e32 v5, 0x7f
	v_cmp_lt_u32_e32 vcc, s8, v4
	v_cndmask_b32_e32 v3, v3, v5, vcc
; %bb.2104:
	s_or_b64 exec, exec, s[2:3]
	v_lshrrev_b32_e32 v2, 24, v2
	s_movk_i32 s2, 0x80
	v_and_or_b32 v2, v2, s2, v3
	global_store_byte v[0:1], v2, off
.LBB8_2105:
	s_mov_b64 s[2:3], 0
.LBB8_2106:
	s_andn2_b64 vcc, exec, s[2:3]
	s_mov_b64 s[2:3], 0
	s_cbranch_vccnz .LBB8_2113
; %bb.2107:
	s_cmp_gt_i32 s16, 14
	s_mov_b64 s[8:9], -1
	s_cbranch_scc0 .LBB8_2111
; %bb.2108:
	s_cmp_eq_u32 s16, 15
	s_mov_b64 s[0:1], -1
	s_cbranch_scc0 .LBB8_2110
; %bb.2109:
	v_cvt_f32_f64_e32 v2, v[12:13]
	s_movk_i32 s0, 0x7fff
	v_mov_b32_e32 v3, 0x7fc0
	v_bfe_u32 v4, v2, 16, 1
	v_cmp_o_f32_e32 vcc, v2, v2
	v_add3_u32 v2, v2, v4, s0
	v_cndmask_b32_sdwa v2, v3, v2, vcc dst_sel:DWORD dst_unused:UNUSED_PAD src0_sel:DWORD src1_sel:WORD_1
	global_store_short v[0:1], v2, off
	s_mov_b64 s[0:1], 0
.LBB8_2110:
	s_mov_b64 s[8:9], 0
.LBB8_2111:
	s_and_b64 vcc, exec, s[8:9]
	s_cbranch_vccz .LBB8_2113
; %bb.2112:
	s_cmp_lg_u32 s16, 11
	s_mov_b64 s[2:3], -1
	s_cselect_b64 s[0:1], -1, 0
.LBB8_2113:
	s_and_b64 vcc, exec, s[0:1]
	s_cbranch_vccnz .LBB8_2135
.LBB8_2114:
	s_mov_b64 s[0:1], 0
	s_branch .LBB8_1716
.LBB8_2115:
	s_mov_b64 s[0:1], 0
                                        ; implicit-def: $sgpr20
                                        ; implicit-def: $vgpr0_vgpr1
	s_branch .LBB8_1715
.LBB8_2116:
	s_mov_b64 s[2:3], 0
	s_mov_b64 s[0:1], -1
	s_branch .LBB8_1716
.LBB8_2117:
	s_trap 2
	s_or_b64 s[14:15], s[14:15], exec
	s_cbranch_execz .LBB8_1572
	s_branch .LBB8_1573
.LBB8_2118:
	s_andn2_saveexec_b64 s[18:19], s[18:19]
	s_cbranch_execz .LBB8_1664
.LBB8_2119:
	s_mov_b32 s21, 0x46000000
	v_add_f32_e64 v3, |v2|, s21
	v_and_b32_e32 v3, 0xff, v3
	v_cmp_ne_u32_e32 vcc, 0, v3
	s_andn2_b64 s[16:17], s[16:17], exec
	s_and_b64 s[22:23], vcc, exec
	s_or_b64 s[16:17], s[16:17], s[22:23]
	s_or_b64 exec, exec, s[18:19]
	v_mov_b32_e32 v11, 0
	s_and_saveexec_b64 s[18:19], s[16:17]
	s_cbranch_execnz .LBB8_1665
	s_branch .LBB8_1666
.LBB8_2120:
	s_trap 2
	s_or_b64 s[14:15], s[14:15], exec
	s_cbranch_execz .LBB8_1712
	s_branch .LBB8_1713
.LBB8_2121:
	s_andn2_saveexec_b64 s[16:17], s[16:17]
	s_cbranch_execz .LBB8_1677
.LBB8_2122:
	s_mov_b32 s18, 0x42800000
	v_add_f32_e64 v3, |v2|, s18
	v_and_b32_e32 v3, 0xff, v3
	v_cmp_ne_u32_e32 vcc, 0, v3
	s_andn2_b64 s[12:13], s[12:13], exec
	s_and_b64 s[18:19], vcc, exec
	s_or_b64 s[12:13], s[12:13], s[18:19]
	s_or_b64 exec, exec, s[16:17]
	v_mov_b32_e32 v11, 0
	s_and_saveexec_b64 s[16:17], s[12:13]
	s_cbranch_execnz .LBB8_1678
	s_branch .LBB8_1679
.LBB8_2123:
	s_andn2_saveexec_b64 s[16:17], s[16:17]
	s_cbranch_execz .LBB8_1829
.LBB8_2124:
	s_mov_b32 s21, 0x46000000
	v_add_f32_e64 v6, |v3|, s21
	v_and_b32_e32 v6, 0xff, v6
	v_cmp_ne_u32_e32 vcc, 0, v6
	s_andn2_b64 s[12:13], s[12:13], exec
	s_and_b64 s[22:23], vcc, exec
	s_or_b64 s[12:13], s[12:13], s[22:23]
	s_or_b64 exec, exec, s[16:17]
	v_mov_b32_e32 v7, 0
	s_and_saveexec_b64 s[16:17], s[12:13]
	s_cbranch_execnz .LBB8_1830
	s_branch .LBB8_1831
.LBB8_2125:
	s_trap 2
	s_or_b64 s[14:15], s[14:15], exec
	s_cbranch_execz .LBB8_1877
	s_branch .LBB8_1878
.LBB8_2126:
	s_andn2_saveexec_b64 s[12:13], s[12:13]
	s_cbranch_execz .LBB8_1842
.LBB8_2127:
	s_mov_b32 s16, 0x42800000
	v_add_f32_e64 v6, |v3|, s16
	v_and_b32_e32 v6, 0xff, v6
	v_cmp_ne_u32_e32 vcc, 0, v6
	s_andn2_b64 s[10:11], s[10:11], exec
	s_and_b64 s[16:17], vcc, exec
	s_or_b64 s[10:11], s[10:11], s[16:17]
	s_or_b64 exec, exec, s[12:13]
	v_mov_b32_e32 v7, 0
	s_and_saveexec_b64 s[12:13], s[10:11]
	s_cbranch_execnz .LBB8_1843
	s_branch .LBB8_1844
.LBB8_2128:
	s_andn2_saveexec_b64 s[16:17], s[16:17]
	s_cbranch_execz .LBB8_1948
.LBB8_2129:
	s_mov_b32 s21, 0x46000000
	v_add_f32_e64 v4, |v3|, s21
	v_and_b32_e32 v4, 0xff, v4
	v_cmp_ne_u32_e32 vcc, 0, v4
	s_andn2_b64 s[12:13], s[12:13], exec
	s_and_b64 s[22:23], vcc, exec
	s_or_b64 s[12:13], s[12:13], s[22:23]
	s_or_b64 exec, exec, s[16:17]
	v_mov_b32_e32 v5, 0
	s_and_saveexec_b64 s[16:17], s[12:13]
	s_cbranch_execnz .LBB8_1949
	s_branch .LBB8_1950
.LBB8_2130:
	s_trap 2
	s_or_b64 s[14:15], s[14:15], exec
	s_cbranch_execz .LBB8_1996
	s_branch .LBB8_1997
.LBB8_2131:
	s_andn2_saveexec_b64 s[12:13], s[12:13]
	s_cbranch_execz .LBB8_1961
.LBB8_2132:
	s_mov_b32 s16, 0x42800000
	v_add_f32_e64 v4, |v3|, s16
	v_and_b32_e32 v4, 0xff, v4
	v_cmp_ne_u32_e32 vcc, 0, v4
	s_andn2_b64 s[10:11], s[10:11], exec
	s_and_b64 s[16:17], vcc, exec
	s_or_b64 s[10:11], s[10:11], s[16:17]
	s_or_b64 exec, exec, s[12:13]
	v_mov_b32_e32 v5, 0
	s_and_saveexec_b64 s[12:13], s[10:11]
	s_cbranch_execnz .LBB8_1962
	s_branch .LBB8_1963
.LBB8_2133:
	s_andn2_saveexec_b64 s[12:13], s[12:13]
	s_cbranch_execz .LBB8_2068
.LBB8_2134:
	s_mov_b32 s17, 0x46000000
	v_add_f32_e64 v3, |v2|, s17
	v_and_b32_e32 v3, 0xff, v3
	v_cmp_ne_u32_e32 vcc, 0, v3
	s_andn2_b64 s[10:11], s[10:11], exec
	s_and_b64 s[18:19], vcc, exec
	s_or_b64 s[10:11], s[10:11], s[18:19]
	s_or_b64 exec, exec, s[12:13]
	v_mov_b32_e32 v4, 0
	s_and_saveexec_b64 s[12:13], s[10:11]
	s_cbranch_execnz .LBB8_2069
	s_branch .LBB8_2070
.LBB8_2135:
	s_mov_b64 s[2:3], 0
	s_or_b64 s[14:15], s[14:15], exec
	s_trap 2
	s_branch .LBB8_2114
.LBB8_2136:
	s_andn2_saveexec_b64 s[10:11], s[10:11]
	s_cbranch_execz .LBB8_2080
.LBB8_2137:
	s_mov_b32 s12, 0x42800000
	v_add_f32_e64 v3, |v2|, s12
	v_and_b32_e32 v3, 0xff, v3
	v_cmp_ne_u32_e32 vcc, 0, v3
	s_andn2_b64 s[8:9], s[8:9], exec
	s_and_b64 s[12:13], vcc, exec
	s_or_b64 s[8:9], s[8:9], s[12:13]
	s_or_b64 exec, exec, s[10:11]
	v_mov_b32_e32 v4, 0
	s_and_saveexec_b64 s[10:11], s[8:9]
	s_cbranch_execnz .LBB8_2081
	s_branch .LBB8_2082
	.section	.rodata,"a",@progbits
	.p2align	6, 0x0
	.amdhsa_kernel _ZN2at6native32elementwise_kernel_manual_unrollILi128ELi4EZNS0_15gpu_kernel_implIZZZNS0_12_GLOBAL__N_130modified_bessel_i1_kernel_cudaERNS_18TensorIteratorBaseEENKUlvE_clEvENKUlvE_clEvEUldE_EEvS5_RKT_EUlibE_EEviT1_
		.amdhsa_group_segment_fixed_size 0
		.amdhsa_private_segment_fixed_size 0
		.amdhsa_kernarg_size 40
		.amdhsa_user_sgpr_count 6
		.amdhsa_user_sgpr_private_segment_buffer 1
		.amdhsa_user_sgpr_dispatch_ptr 0
		.amdhsa_user_sgpr_queue_ptr 0
		.amdhsa_user_sgpr_kernarg_segment_ptr 1
		.amdhsa_user_sgpr_dispatch_id 0
		.amdhsa_user_sgpr_flat_scratch_init 0
		.amdhsa_user_sgpr_private_segment_size 0
		.amdhsa_uses_dynamic_stack 0
		.amdhsa_system_sgpr_private_segment_wavefront_offset 0
		.amdhsa_system_sgpr_workgroup_id_x 1
		.amdhsa_system_sgpr_workgroup_id_y 0
		.amdhsa_system_sgpr_workgroup_id_z 0
		.amdhsa_system_sgpr_workgroup_info 0
		.amdhsa_system_vgpr_workitem_id 0
		.amdhsa_next_free_vgpr 21
		.amdhsa_next_free_sgpr 44
		.amdhsa_reserve_vcc 1
		.amdhsa_reserve_flat_scratch 0
		.amdhsa_float_round_mode_32 0
		.amdhsa_float_round_mode_16_64 0
		.amdhsa_float_denorm_mode_32 3
		.amdhsa_float_denorm_mode_16_64 3
		.amdhsa_dx10_clamp 1
		.amdhsa_ieee_mode 1
		.amdhsa_fp16_overflow 0
		.amdhsa_exception_fp_ieee_invalid_op 0
		.amdhsa_exception_fp_denorm_src 0
		.amdhsa_exception_fp_ieee_div_zero 0
		.amdhsa_exception_fp_ieee_overflow 0
		.amdhsa_exception_fp_ieee_underflow 0
		.amdhsa_exception_fp_ieee_inexact 0
		.amdhsa_exception_int_div_zero 0
	.end_amdhsa_kernel
	.section	.text._ZN2at6native32elementwise_kernel_manual_unrollILi128ELi4EZNS0_15gpu_kernel_implIZZZNS0_12_GLOBAL__N_130modified_bessel_i1_kernel_cudaERNS_18TensorIteratorBaseEENKUlvE_clEvENKUlvE_clEvEUldE_EEvS5_RKT_EUlibE_EEviT1_,"axG",@progbits,_ZN2at6native32elementwise_kernel_manual_unrollILi128ELi4EZNS0_15gpu_kernel_implIZZZNS0_12_GLOBAL__N_130modified_bessel_i1_kernel_cudaERNS_18TensorIteratorBaseEENKUlvE_clEvENKUlvE_clEvEUldE_EEvS5_RKT_EUlibE_EEviT1_,comdat
.Lfunc_end8:
	.size	_ZN2at6native32elementwise_kernel_manual_unrollILi128ELi4EZNS0_15gpu_kernel_implIZZZNS0_12_GLOBAL__N_130modified_bessel_i1_kernel_cudaERNS_18TensorIteratorBaseEENKUlvE_clEvENKUlvE_clEvEUldE_EEvS5_RKT_EUlibE_EEviT1_, .Lfunc_end8-_ZN2at6native32elementwise_kernel_manual_unrollILi128ELi4EZNS0_15gpu_kernel_implIZZZNS0_12_GLOBAL__N_130modified_bessel_i1_kernel_cudaERNS_18TensorIteratorBaseEENKUlvE_clEvENKUlvE_clEvEUldE_EEvS5_RKT_EUlibE_EEviT1_
                                        ; -- End function
	.set _ZN2at6native32elementwise_kernel_manual_unrollILi128ELi4EZNS0_15gpu_kernel_implIZZZNS0_12_GLOBAL__N_130modified_bessel_i1_kernel_cudaERNS_18TensorIteratorBaseEENKUlvE_clEvENKUlvE_clEvEUldE_EEvS5_RKT_EUlibE_EEviT1_.num_vgpr, 21
	.set _ZN2at6native32elementwise_kernel_manual_unrollILi128ELi4EZNS0_15gpu_kernel_implIZZZNS0_12_GLOBAL__N_130modified_bessel_i1_kernel_cudaERNS_18TensorIteratorBaseEENKUlvE_clEvENKUlvE_clEvEUldE_EEvS5_RKT_EUlibE_EEviT1_.num_agpr, 0
	.set _ZN2at6native32elementwise_kernel_manual_unrollILi128ELi4EZNS0_15gpu_kernel_implIZZZNS0_12_GLOBAL__N_130modified_bessel_i1_kernel_cudaERNS_18TensorIteratorBaseEENKUlvE_clEvENKUlvE_clEvEUldE_EEvS5_RKT_EUlibE_EEviT1_.numbered_sgpr, 44
	.set _ZN2at6native32elementwise_kernel_manual_unrollILi128ELi4EZNS0_15gpu_kernel_implIZZZNS0_12_GLOBAL__N_130modified_bessel_i1_kernel_cudaERNS_18TensorIteratorBaseEENKUlvE_clEvENKUlvE_clEvEUldE_EEvS5_RKT_EUlibE_EEviT1_.num_named_barrier, 0
	.set _ZN2at6native32elementwise_kernel_manual_unrollILi128ELi4EZNS0_15gpu_kernel_implIZZZNS0_12_GLOBAL__N_130modified_bessel_i1_kernel_cudaERNS_18TensorIteratorBaseEENKUlvE_clEvENKUlvE_clEvEUldE_EEvS5_RKT_EUlibE_EEviT1_.private_seg_size, 0
	.set _ZN2at6native32elementwise_kernel_manual_unrollILi128ELi4EZNS0_15gpu_kernel_implIZZZNS0_12_GLOBAL__N_130modified_bessel_i1_kernel_cudaERNS_18TensorIteratorBaseEENKUlvE_clEvENKUlvE_clEvEUldE_EEvS5_RKT_EUlibE_EEviT1_.uses_vcc, 1
	.set _ZN2at6native32elementwise_kernel_manual_unrollILi128ELi4EZNS0_15gpu_kernel_implIZZZNS0_12_GLOBAL__N_130modified_bessel_i1_kernel_cudaERNS_18TensorIteratorBaseEENKUlvE_clEvENKUlvE_clEvEUldE_EEvS5_RKT_EUlibE_EEviT1_.uses_flat_scratch, 0
	.set _ZN2at6native32elementwise_kernel_manual_unrollILi128ELi4EZNS0_15gpu_kernel_implIZZZNS0_12_GLOBAL__N_130modified_bessel_i1_kernel_cudaERNS_18TensorIteratorBaseEENKUlvE_clEvENKUlvE_clEvEUldE_EEvS5_RKT_EUlibE_EEviT1_.has_dyn_sized_stack, 0
	.set _ZN2at6native32elementwise_kernel_manual_unrollILi128ELi4EZNS0_15gpu_kernel_implIZZZNS0_12_GLOBAL__N_130modified_bessel_i1_kernel_cudaERNS_18TensorIteratorBaseEENKUlvE_clEvENKUlvE_clEvEUldE_EEvS5_RKT_EUlibE_EEviT1_.has_recursion, 0
	.set _ZN2at6native32elementwise_kernel_manual_unrollILi128ELi4EZNS0_15gpu_kernel_implIZZZNS0_12_GLOBAL__N_130modified_bessel_i1_kernel_cudaERNS_18TensorIteratorBaseEENKUlvE_clEvENKUlvE_clEvEUldE_EEvS5_RKT_EUlibE_EEviT1_.has_indirect_call, 0
	.section	.AMDGPU.csdata,"",@progbits
; Kernel info:
; codeLenInByte = 61488
; TotalNumSgprs: 48
; NumVgprs: 21
; ScratchSize: 0
; MemoryBound: 1
; FloatMode: 240
; IeeeMode: 1
; LDSByteSize: 0 bytes/workgroup (compile time only)
; SGPRBlocks: 5
; VGPRBlocks: 5
; NumSGPRsForWavesPerEU: 48
; NumVGPRsForWavesPerEU: 21
; Occupancy: 10
; WaveLimiterHint : 0
; COMPUTE_PGM_RSRC2:SCRATCH_EN: 0
; COMPUTE_PGM_RSRC2:USER_SGPR: 6
; COMPUTE_PGM_RSRC2:TRAP_HANDLER: 0
; COMPUTE_PGM_RSRC2:TGID_X_EN: 1
; COMPUTE_PGM_RSRC2:TGID_Y_EN: 0
; COMPUTE_PGM_RSRC2:TGID_Z_EN: 0
; COMPUTE_PGM_RSRC2:TIDIG_COMP_CNT: 0
	.section	.text._ZN2at6native32elementwise_kernel_manual_unrollILi128ELi4EZNS0_15gpu_kernel_implIZZZNS0_12_GLOBAL__N_130modified_bessel_i1_kernel_cudaERNS_18TensorIteratorBaseEENKUlvE_clEvENKUlvE_clEvEUldE_EEvS5_RKT_EUlibE0_EEviT1_,"axG",@progbits,_ZN2at6native32elementwise_kernel_manual_unrollILi128ELi4EZNS0_15gpu_kernel_implIZZZNS0_12_GLOBAL__N_130modified_bessel_i1_kernel_cudaERNS_18TensorIteratorBaseEENKUlvE_clEvENKUlvE_clEvEUldE_EEvS5_RKT_EUlibE0_EEviT1_,comdat
	.globl	_ZN2at6native32elementwise_kernel_manual_unrollILi128ELi4EZNS0_15gpu_kernel_implIZZZNS0_12_GLOBAL__N_130modified_bessel_i1_kernel_cudaERNS_18TensorIteratorBaseEENKUlvE_clEvENKUlvE_clEvEUldE_EEvS5_RKT_EUlibE0_EEviT1_ ; -- Begin function _ZN2at6native32elementwise_kernel_manual_unrollILi128ELi4EZNS0_15gpu_kernel_implIZZZNS0_12_GLOBAL__N_130modified_bessel_i1_kernel_cudaERNS_18TensorIteratorBaseEENKUlvE_clEvENKUlvE_clEvEUldE_EEvS5_RKT_EUlibE0_EEviT1_
	.p2align	8
	.type	_ZN2at6native32elementwise_kernel_manual_unrollILi128ELi4EZNS0_15gpu_kernel_implIZZZNS0_12_GLOBAL__N_130modified_bessel_i1_kernel_cudaERNS_18TensorIteratorBaseEENKUlvE_clEvENKUlvE_clEvEUldE_EEvS5_RKT_EUlibE0_EEviT1_,@function
_ZN2at6native32elementwise_kernel_manual_unrollILi128ELi4EZNS0_15gpu_kernel_implIZZZNS0_12_GLOBAL__N_130modified_bessel_i1_kernel_cudaERNS_18TensorIteratorBaseEENKUlvE_clEvENKUlvE_clEvEUldE_EEvS5_RKT_EUlibE0_EEviT1_: ; @_ZN2at6native32elementwise_kernel_manual_unrollILi128ELi4EZNS0_15gpu_kernel_implIZZZNS0_12_GLOBAL__N_130modified_bessel_i1_kernel_cudaERNS_18TensorIteratorBaseEENKUlvE_clEvENKUlvE_clEvEUldE_EEvS5_RKT_EUlibE0_EEviT1_
; %bb.0:
	s_load_dword s70, s[4:5], 0x0
	s_load_dword s33, s[4:5], 0x8
	s_add_u32 s34, s4, 8
	s_addc_u32 s35, s5, 0
	v_lshl_or_b32 v11, s6, 9, v0
	v_or_b32_e32 v5, 0x180, v11
	s_waitcnt lgkmcnt(0)
	s_add_i32 s72, s33, -1
	s_cmp_gt_u32 s72, 1
	v_cmp_le_i32_e32 vcc, s70, v5
	s_cselect_b64 s[40:41], -1, 0
	s_mov_b64 s[6:7], 0
	s_mov_b64 s[28:29], 0
	s_and_saveexec_b64 s[0:1], vcc
	s_xor_b64 s[42:43], exec, s[0:1]
	s_cbranch_execz .LBB9_1134
; %bb.1:
	v_mov_b32_e32 v0, 0
	global_load_ushort v0, v0, s[34:35] offset:345
	s_load_dwordx4 s[36:39], s[34:35], 0x4
	s_load_dwordx2 s[44:45], s[34:35], 0x14
	s_load_dwordx4 s[28:31], s[34:35], 0xc4
	s_load_dwordx4 s[24:27], s[34:35], 0x148
	s_cmp_lg_u32 s33, 0
	s_cselect_b64 s[50:51], -1, 0
	s_add_u32 s48, s34, 0xc4
	s_addc_u32 s49, s35, 0
	s_min_u32 s75, s72, 15
	s_cmp_gt_u32 s33, 1
	s_cselect_b64 s[46:47], -1, 0
	v_cmp_gt_i32_e32 vcc, s70, v11
	s_mov_b64 s[2:3], -1
	s_mov_b64 s[60:61], 0
	s_mov_b64 s[54:55], 0
	;; [unrolled: 1-line block ×3, first 2 shown]
	s_waitcnt vmcnt(0)
	v_readfirstlane_b32 s73, v0
	s_and_b32 s0, 0xffff, s73
	s_lshr_b32 s74, s0, 8
	s_and_saveexec_b64 s[56:57], vcc
	s_cbranch_execz .LBB9_278
; %bb.2:
	s_andn2_b64 vcc, exec, s[40:41]
	s_cbranch_vccnz .LBB9_7
; %bb.3:
	s_andn2_b64 vcc, exec, s[50:51]
	s_cbranch_vccnz .LBB9_8
; %bb.4:
	s_add_i32 s59, s75, 1
	s_cmp_eq_u32 s72, 2
	s_cbranch_scc1 .LBB9_9
; %bb.5:
	s_and_b32 s58, s59, 28
	v_mov_b32_e32 v0, 0
	s_mov_b32 s62, 0
	s_mov_b64 s[52:53], s[34:35]
	s_mov_b64 s[54:55], s[48:49]
	v_mov_b32_e32 v2, 0
	v_mov_b32_e32 v1, v11
.LBB9_6:                                ; =>This Inner Loop Header: Depth=1
	s_load_dwordx8 s[16:23], s[52:53], 0x4
	s_load_dwordx4 s[0:3], s[52:53], 0x24
	s_load_dwordx8 s[8:15], s[54:55], 0x0
	s_add_u32 s52, s52, 48
	s_addc_u32 s53, s53, 0
	s_waitcnt lgkmcnt(0)
	v_mul_hi_u32 v3, s17, v1
	s_add_i32 s62, s62, 4
	s_add_u32 s54, s54, 32
	s_addc_u32 s55, s55, 0
	v_add_u32_e32 v3, v1, v3
	v_lshrrev_b32_e32 v3, s18, v3
	v_mul_lo_u32 v4, v3, s16
	v_mul_hi_u32 v5, s20, v3
	s_cmp_lg_u32 s58, s62
	v_sub_u32_e32 v1, v1, v4
	v_add_u32_e32 v4, v3, v5
	v_mul_lo_u32 v5, v1, s8
	v_mul_lo_u32 v6, v1, s9
	v_lshrrev_b32_e32 v1, s21, v4
	v_mul_lo_u32 v4, v1, s19
	v_mul_hi_u32 v7, s23, v1
	v_sub_u32_e32 v3, v3, v4
	v_add_u32_e32 v4, v1, v7
	v_lshrrev_b32_e32 v4, s0, v4
	v_mul_hi_u32 v8, s2, v4
	v_mul_lo_u32 v9, v4, s22
	v_mul_lo_u32 v7, v3, s10
	;; [unrolled: 1-line block ×3, first 2 shown]
	v_sub_u32_e32 v9, v1, v9
	v_add_u32_e32 v1, v4, v8
	v_lshrrev_b32_e32 v1, s3, v1
	v_mul_lo_u32 v8, v1, s1
	v_mul_lo_u32 v10, v9, s12
	;; [unrolled: 1-line block ×3, first 2 shown]
	v_add3_u32 v2, v5, v2, v7
	v_sub_u32_e32 v4, v4, v8
	v_mul_lo_u32 v8, v4, s14
	v_mul_lo_u32 v4, v4, s15
	v_add3_u32 v0, v6, v0, v3
	v_add3_u32 v2, v10, v2, v8
	;; [unrolled: 1-line block ×3, first 2 shown]
	s_cbranch_scc1 .LBB9_6
	s_branch .LBB9_10
.LBB9_7:
                                        ; implicit-def: $vgpr2
                                        ; implicit-def: $vgpr0
	s_branch .LBB9_14
.LBB9_8:
	v_mov_b32_e32 v2, 0
	v_mov_b32_e32 v0, 0
	s_branch .LBB9_13
.LBB9_9:
	s_mov_b32 s58, 0
	v_mov_b32_e32 v2, 0
	v_mov_b32_e32 v0, 0
	;; [unrolled: 1-line block ×3, first 2 shown]
.LBB9_10:
	s_and_b32 s8, s59, 3
	s_cmp_eq_u32 s8, 0
	s_cbranch_scc1 .LBB9_13
; %bb.11:
	s_lshl_b32 s0, s58, 3
	s_add_u32 s0, s34, s0
	s_addc_u32 s1, s35, 0
	s_add_u32 s0, s0, 0xc4
	s_addc_u32 s1, s1, 0
	s_mul_i32 s2, s58, 12
	s_add_u32 s2, s34, s2
	s_addc_u32 s3, s35, 0
.LBB9_12:                               ; =>This Inner Loop Header: Depth=1
	s_load_dwordx2 s[10:11], s[2:3], 0x4
	s_load_dword s9, s[2:3], 0xc
	s_load_dwordx2 s[12:13], s[0:1], 0x0
	s_add_u32 s2, s2, 12
	s_addc_u32 s3, s3, 0
	s_waitcnt lgkmcnt(0)
	v_mul_hi_u32 v3, s11, v1
	s_add_u32 s0, s0, 8
	s_addc_u32 s1, s1, 0
	s_add_i32 s8, s8, -1
	v_add_u32_e32 v3, v1, v3
	v_lshrrev_b32_e32 v4, s9, v3
	v_mul_lo_u32 v3, v4, s10
	s_cmp_lg_u32 s8, 0
	v_sub_u32_e32 v1, v1, v3
	v_mad_u64_u32 v[2:3], s[10:11], v1, s12, v[2:3]
	v_mad_u64_u32 v[0:1], s[10:11], v1, s13, v[0:1]
	v_mov_b32_e32 v1, v4
	s_cbranch_scc1 .LBB9_12
.LBB9_13:
	s_cbranch_execnz .LBB9_16
.LBB9_14:
	s_waitcnt lgkmcnt(0)
	v_mul_hi_u32 v0, s37, v11
	s_andn2_b64 vcc, exec, s[46:47]
	v_add_u32_e32 v0, v11, v0
	v_lshrrev_b32_e32 v1, s38, v0
	v_mul_lo_u32 v0, v1, s36
	v_sub_u32_e32 v0, v11, v0
	v_mul_lo_u32 v2, v0, s28
	v_mul_lo_u32 v0, v0, s29
	s_cbranch_vccnz .LBB9_16
; %bb.15:
	v_mul_hi_u32 v3, s44, v1
	v_add_u32_e32 v3, v1, v3
	v_lshrrev_b32_e32 v3, s45, v3
	v_mul_lo_u32 v3, v3, s39
	v_sub_u32_e32 v1, v1, v3
	v_mad_u64_u32 v[2:3], s[0:1], v1, s30, v[2:3]
	v_mad_u64_u32 v[0:1], s[0:1], v1, s31, v[0:1]
.LBB9_16:
	s_waitcnt lgkmcnt(0)
	v_mov_b32_e32 v1, s27
	s_and_b32 s12, 0xffff, s74
	v_add_co_u32_e32 v0, vcc, s26, v0
	s_cmp_lt_i32 s12, 11
	v_addc_co_u32_e32 v1, vcc, 0, v1, vcc
	s_cbranch_scc1 .LBB9_23
; %bb.17:
	s_cmp_gt_i32 s12, 25
	s_cbranch_scc0 .LBB9_44
; %bb.18:
	s_cmp_gt_i32 s12, 28
	s_cbranch_scc0 .LBB9_47
; %bb.19:
	s_cmp_gt_i32 s12, 43
	s_cbranch_scc0 .LBB9_49
; %bb.20:
	s_cmp_gt_i32 s12, 45
	s_cbranch_scc0 .LBB9_51
; %bb.21:
	s_cmp_eq_u32 s12, 46
	s_mov_b64 s[8:9], 0
	s_cbranch_scc0 .LBB9_53
; %bb.22:
	global_load_dword v3, v[0:1], off
	s_mov_b64 s[0:1], -1
	s_mov_b64 s[2:3], 0
	s_waitcnt vmcnt(0)
	v_lshlrev_b32_e32 v3, 16, v3
	v_cvt_f64_f32_e32 v[3:4], v3
	s_branch .LBB9_55
.LBB9_23:
	s_mov_b64 s[2:3], 0
                                        ; implicit-def: $vgpr3_vgpr4
	s_mov_b64 s[0:1], 0
	s_cbranch_execnz .LBB9_228
.LBB9_24:
	s_andn2_b64 vcc, exec, s[0:1]
	s_cbranch_vccnz .LBB9_275
.LBB9_25:
	s_mov_b32 s0, 0
	s_mov_b32 s1, 0x40200000
	s_waitcnt vmcnt(0)
	v_cmp_le_f64_e64 s[0:1], |v[3:4]|, s[0:1]
                                        ; implicit-def: $vgpr0_vgpr1
	s_and_saveexec_b64 s[8:9], s[0:1]
	s_xor_b64 s[0:1], exec, s[8:9]
	s_cbranch_execz .LBB9_31
; %bb.26:
	v_fma_f64 v[0:1], |v[3:4]|, 0.5, -2.0
	v_mov_b32_e32 v5, 0xc38a0576
	v_mov_b32_e32 v6, 0xbc7857d0
	s_mov_b32 s9, 0x3c499f2a
	s_mov_b32 s8, 0xc3c4014
	;; [unrolled: 1-line block ×4, first 2 shown]
	v_mov_b32_e32 v14, 0xfca7ab0c
	v_fma_f64 v[5:6], v[0:1], s[8:9], v[5:6]
	s_mov_b32 s9, 0xbc499f2a
	v_mov_b32_e32 v15, 0x3e928af3
	v_cmp_ngt_f64_e32 vcc, 0, v[3:4]
	v_fma_f64 v[7:8], v[0:1], v[5:6], s[8:9]
	s_mov_b32 s8, 0xe593bfac
	s_mov_b32 s9, 0x3ca663e3
	v_add_f64 v[7:8], v[7:8], s[8:9]
	s_mov_b32 s8, 0x7e0d1573
	s_mov_b32 s9, 0xbcd3eaaa
	v_fma_f64 v[5:6], v[0:1], v[7:8], -v[5:6]
	v_add_f64 v[5:6], v[5:6], s[8:9]
	s_mov_b32 s8, 0x615290c
	s_mov_b32 s9, 0x3d011d7f
	v_fma_f64 v[7:8], v[0:1], v[5:6], -v[7:8]
	v_add_f64 v[7:8], v[7:8], s[8:9]
	s_mov_b32 s8, 0x1c8f0b3b
	s_mov_b32 s9, 0xbd2c628e
	v_fma_f64 v[5:6], v[0:1], v[7:8], -v[5:6]
	v_add_f64 v[5:6], v[5:6], s[8:9]
	s_mov_b32 s8, 0x4779d955
	s_mov_b32 s9, 0x3d56af78
	v_fma_f64 v[7:8], v[0:1], v[5:6], -v[7:8]
	v_add_f64 v[7:8], v[7:8], s[8:9]
	s_mov_b32 s8, 0x5fb70366
	s_mov_b32 s9, 0xbd817383
	v_fma_f64 v[5:6], v[0:1], v[7:8], -v[5:6]
	v_add_f64 v[5:6], v[5:6], s[8:9]
	s_mov_b32 s8, 0xb21d3154
	s_mov_b32 s9, 0x3da9cee2
	v_fma_f64 v[7:8], v[0:1], v[5:6], -v[7:8]
	v_add_f64 v[7:8], v[7:8], s[8:9]
	s_mov_b32 s8, 0x97eb07de
	s_mov_b32 s9, 0xbdd25103
	v_fma_f64 v[5:6], v[0:1], v[7:8], -v[5:6]
	v_add_f64 v[5:6], v[5:6], s[8:9]
	s_mov_b32 s8, 0xb43fdf6c
	s_mov_b32 s9, 0x3df8ea34
	v_fma_f64 v[7:8], v[0:1], v[5:6], -v[7:8]
	v_add_f64 v[7:8], v[7:8], s[8:9]
	s_mov_b32 s8, 0x28ea67e6
	s_mov_b32 s9, 0xbe20361b
	v_fma_f64 v[5:6], v[0:1], v[7:8], -v[5:6]
	v_add_f64 v[5:6], v[5:6], s[8:9]
	s_mov_b32 s8, 0x2395010
	s_mov_b32 s9, 0x3e44258e
	v_fma_f64 v[7:8], v[0:1], v[5:6], -v[7:8]
	v_add_f64 v[7:8], v[7:8], s[8:9]
	s_mov_b32 s8, 0x24b8c3e8
	s_mov_b32 s9, 0xbe67dd3e
	v_fma_f64 v[5:6], v[0:1], v[7:8], -v[5:6]
	v_add_f64 v[5:6], v[5:6], s[8:9]
	s_mov_b32 s8, 0xb347d108
	s_mov_b32 s9, 0x3e8ae344
	v_fma_f64 v[7:8], v[0:1], v[5:6], -v[7:8]
	v_add_f64 v[7:8], v[7:8], s[8:9]
	s_mov_b32 s8, 0x8363992a
	s_mov_b32 s9, 0xbeacc079
	v_fma_f64 v[5:6], v[0:1], v[7:8], -v[5:6]
	v_add_f64 v[5:6], v[5:6], s[8:9]
	s_mov_b32 s8, 0xd511afc5
	s_mov_b32 s9, 0x3ecd1c4e
	v_fma_f64 v[7:8], v[0:1], v[5:6], -v[7:8]
	v_add_f64 v[7:8], v[7:8], s[8:9]
	s_mov_b32 s8, 0xb8debbcf
	s_mov_b32 s9, 0xbeebd5f9
	v_fma_f64 v[5:6], v[0:1], v[7:8], -v[5:6]
	v_add_f64 v[5:6], v[5:6], s[8:9]
	s_mov_b32 s8, 0x42c70d0b
	s_mov_b32 s9, 0x3f0911b5
	v_fma_f64 v[7:8], v[0:1], v[5:6], -v[7:8]
	v_add_f64 v[7:8], v[7:8], s[8:9]
	s_mov_b32 s8, 0xd3d694fe
	s_mov_b32 s9, 0xbf2533ca
	v_fma_f64 v[5:6], v[0:1], v[7:8], -v[5:6]
	v_add_f64 v[5:6], v[5:6], s[8:9]
	s_mov_b32 s8, 0xb6c6df7d
	s_mov_b32 s9, 0x3f40c95d
	v_fma_f64 v[7:8], v[0:1], v[5:6], -v[7:8]
	v_add_f64 v[7:8], v[7:8], s[8:9]
	s_mov_b32 s8, 0xb3cd4a4
	s_mov_b32 s9, 0xbf58cc62
	v_fma_f64 v[5:6], v[0:1], v[7:8], -v[5:6]
	v_add_f64 v[5:6], v[5:6], s[8:9]
	s_mov_b32 s8, 0x49d3a1b4
	s_mov_b32 s9, 0x3f710653
	v_fma_f64 v[7:8], v[0:1], v[5:6], -v[7:8]
	v_add_f64 v[7:8], v[7:8], s[8:9]
	s_mov_b32 s8, 0x652b82fe
	s_mov_b32 s9, 0x3ff71547
	v_mul_f64 v[9:10], |v[3:4]|, s[8:9]
	s_mov_b32 s8, 0x7913a26a
	s_mov_b32 s9, 0xbf85a29f
	v_fma_f64 v[5:6], v[0:1], v[7:8], -v[5:6]
	v_rndne_f64_e32 v[9:10], v[9:10]
	v_add_f64 v[5:6], v[5:6], s[8:9]
	s_mov_b32 s8, 0xfefa39ef
	s_mov_b32 s9, 0xbfe62e42
	v_fma_f64 v[12:13], v[9:10], s[8:9], |v[3:4]|
	s_mov_b32 s8, 0xe7bb2349
	s_mov_b32 s9, 0x3f9951e3
	v_fma_f64 v[7:8], v[0:1], v[5:6], -v[7:8]
	v_fma_f64 v[12:13], v[9:10], s[10:11], v[12:13]
	s_mov_b32 s10, 0x623fde64
	s_mov_b32 s11, 0x3ec71dee
	v_cvt_i32_f64_e32 v9, v[9:10]
	v_add_f64 v[7:8], v[7:8], s[8:9]
	s_mov_b32 s8, 0x6a5dcb37
	s_mov_b32 s9, 0x3e5ade15
	v_fma_f64 v[14:15], v[12:13], s[8:9], v[14:15]
	s_mov_b32 s8, 0x537c9ebc
	s_mov_b32 s9, 0xbfab1bbc
	v_fma_f64 v[5:6], v[0:1], v[7:8], -v[5:6]
	v_fma_f64 v[14:15], v[12:13], v[14:15], s[10:11]
	s_mov_b32 s10, 0x14761f6e
	s_mov_b32 s11, 0x3f2a01a0
	v_add_f64 v[5:6], v[5:6], s[8:9]
	s_mov_b32 s8, 0x7c89e6b0
	s_mov_b32 s9, 0x3efa0199
	v_fma_f64 v[14:15], v[12:13], v[14:15], s[8:9]
	s_mov_b32 s8, 0xd536f53c
	s_mov_b32 s9, 0x3fba46da
	v_fma_f64 v[7:8], v[0:1], v[5:6], -v[7:8]
	v_fma_f64 v[14:15], v[12:13], v[14:15], s[10:11]
	s_mov_b32 s10, 0x11122322
	s_mov_b32 s11, 0x3f811111
	;; [unrolled: 10-line block ×3, first 2 shown]
	v_add_f64 v[5:6], v[5:6], s[8:9]
	s_mov_b32 s8, 0x555502a1
	s_mov_b32 s9, 0x3fa55555
	v_fma_f64 v[0:1], v[0:1], v[5:6], -v[7:8]
	v_fma_f64 v[5:6], v[12:13], v[14:15], s[8:9]
	s_mov_b32 s8, 0x724a7ffa
	s_mov_b32 s9, 0x3fd02a63
	v_add_f64 v[0:1], v[0:1], s[8:9]
	v_fma_f64 v[5:6], v[12:13], v[5:6], s[10:11]
	s_mov_b32 s8, 11
	s_mov_b32 s9, 0x3fe00000
	v_add_f64 v[0:1], v[0:1], -v[7:8]
	v_fma_f64 v[5:6], v[12:13], v[5:6], s[8:9]
	v_mul_f64 v[0:1], v[0:1], 0.5
	v_fma_f64 v[7:8], v[12:13], v[5:6], 1.0
	v_mul_f64 v[5:6], |v[3:4]|, v[0:1]
	v_fma_f64 v[7:8], v[12:13], v[7:8], 1.0
                                        ; implicit-def: $vgpr0_vgpr1
	s_and_saveexec_b64 s[8:9], vcc
	s_xor_b64 s[8:9], exec, s[8:9]
	s_cbranch_execz .LBB9_28
; %bb.27:
	s_mov_b32 s10, 0
	s_mov_b32 s11, 0x40900000
	v_ldexp_f64 v[0:1], v[7:8], v9
	v_cmp_ngt_f64_e64 vcc, |v[3:4]|, s[10:11]
	v_mov_b32_e32 v7, 0x7ff00000
                                        ; implicit-def: $vgpr9
                                        ; implicit-def: $vgpr3_vgpr4
	v_cndmask_b32_e32 v1, v7, v1, vcc
	v_cndmask_b32_e32 v0, 0, v0, vcc
	v_mul_f64 v[0:1], v[0:1], v[5:6]
                                        ; implicit-def: $vgpr7_vgpr8
                                        ; implicit-def: $vgpr5_vgpr6
.LBB9_28:
	s_andn2_saveexec_b64 s[8:9], s[8:9]
	s_cbranch_execz .LBB9_30
; %bb.29:
	s_mov_b32 s10, 0
	s_mov_b32 s11, 0x40900000
	v_ldexp_f64 v[0:1], -v[7:8], v9
	v_cmp_ngt_f64_e64 vcc, |v[3:4]|, s[10:11]
	v_mov_b32_e32 v7, 0xfff00000
	v_cndmask_b32_e32 v1, v7, v1, vcc
	v_cndmask_b32_e32 v0, 0, v0, vcc
	v_mul_f64 v[0:1], v[0:1], v[5:6]
.LBB9_30:
	s_or_b64 exec, exec, s[8:9]
                                        ; implicit-def: $vgpr3_vgpr4
.LBB9_31:
	s_andn2_saveexec_b64 s[8:9], s[0:1]
	s_cbranch_execz .LBB9_37
; %bb.32:
	s_mov_b32 s0, 0
	v_and_b32_e32 v1, 0x7fffffff, v4
	v_mov_b32_e32 v0, v3
	s_mov_b32 s1, 0x40400000
	v_div_scale_f64 v[5:6], s[10:11], v[0:1], v[0:1], s[0:1]
	v_div_scale_f64 v[0:1], vcc, s[0:1], v[0:1], s[0:1]
	v_mov_b32_e32 v14, 0xfca7ab0c
	v_mov_b32_e32 v15, 0x3e928af3
	v_rcp_f64_e32 v[7:8], v[5:6]
	v_fma_f64 v[9:10], -v[5:6], v[7:8], 1.0
	v_fma_f64 v[7:8], v[7:8], v[9:10], v[7:8]
	v_fma_f64 v[9:10], -v[5:6], v[7:8], 1.0
	v_fma_f64 v[7:8], v[7:8], v[9:10], v[7:8]
	v_mul_f64 v[9:10], v[0:1], v[7:8]
	v_fma_f64 v[0:1], -v[5:6], v[9:10], v[0:1]
	v_mov_b32_e32 v5, 0xea87b950
	v_mov_b32_e32 v6, 0x3c545b8a
	v_div_fmas_f64 v[0:1], v[0:1], v[7:8], v[9:10]
	v_cmp_ngt_f64_e32 vcc, 0, v[3:4]
	v_div_fixup_f64 v[0:1], v[0:1], |v[3:4]|, s[0:1]
	s_mov_b32 s1, 0x3c61556d
	s_mov_b32 s0, 0xb352e8e6
	v_add_f64 v[0:1], v[0:1], -2.0
	v_fma_f64 v[5:6], v[0:1], s[0:1], v[5:6]
	s_mov_b32 s1, 0xbc61556d
	v_fma_f64 v[7:8], v[0:1], v[5:6], s[0:1]
	s_mov_b32 s0, 0xb2532277
	s_mov_b32 s1, 0xbc8acea3
	v_add_f64 v[7:8], v[7:8], s[0:1]
	s_mov_b32 s0, 0x9c773320
	s_mov_b32 s1, 0xbc82806c
	v_fma_f64 v[5:6], v[0:1], v[7:8], -v[5:6]
	v_add_f64 v[5:6], v[5:6], s[0:1]
	s_mov_b32 s0, 0xfceb588a
	s_mov_b32 s1, 0x3cb55915
	v_fma_f64 v[7:8], v[0:1], v[5:6], -v[7:8]
	;; [unrolled: 4-line block ×14, first 2 shown]
	v_add_f64 v[7:8], v[7:8], s[0:1]
	s_mov_b32 s0, 0x652b82fe
	s_mov_b32 s1, 0x3ff71547
	v_mul_f64 v[9:10], |v[3:4]|, s[0:1]
	s_mov_b32 s0, 0x5423dd80
	s_mov_b32 s1, 0xbe0334ca
	v_fma_f64 v[5:6], v[0:1], v[7:8], -v[5:6]
	v_rndne_f64_e32 v[9:10], v[9:10]
	v_add_f64 v[5:6], v[5:6], s[0:1]
	s_mov_b32 s0, 0xfefa39ef
	s_mov_b32 s1, 0xbfe62e42
	v_fma_f64 v[12:13], v[9:10], s[0:1], |v[3:4]|
	s_mov_b32 s0, 0x9ad53528
	s_mov_b32 s1, 0xbe30790b
	v_fma_f64 v[7:8], v[0:1], v[5:6], -v[7:8]
	v_add_f64 v[7:8], v[7:8], s[0:1]
	s_mov_b32 s0, 0x3b39803f
	s_mov_b32 s1, 0xbc7abc9e
	v_fma_f64 v[12:13], v[9:10], s[0:1], v[12:13]
	s_mov_b32 s0, 0x6a5dcb37
	s_mov_b32 s1, 0x3e5ade15
	v_cvt_i32_f64_e32 v9, v[9:10]
	v_fma_f64 v[5:6], v[0:1], v[7:8], -v[5:6]
	v_fma_f64 v[14:15], v[12:13], s[0:1], v[14:15]
	s_mov_b32 s0, 0x94bb46c1
	s_mov_b32 s1, 0xbe5c4153
	v_add_f64 v[5:6], v[5:6], s[0:1]
	s_mov_b32 s0, 0x623fde64
	s_mov_b32 s1, 0x3ec71dee
	v_fma_f64 v[14:15], v[12:13], v[14:15], s[0:1]
	s_mov_b32 s0, 0x7c89e6b0
	s_mov_b32 s1, 0x3efa0199
	v_fma_f64 v[7:8], v[0:1], v[5:6], -v[7:8]
	v_fma_f64 v[14:15], v[12:13], v[14:15], s[0:1]
	s_mov_b32 s0, 0x2e9e5443
	s_mov_b32 s1, 0xbe90dbfd
	v_add_f64 v[7:8], v[7:8], s[0:1]
	s_mov_b32 s0, 0x14761f6e
	s_mov_b32 s1, 0x3f2a01a0
	v_fma_f64 v[14:15], v[12:13], v[14:15], s[0:1]
	s_mov_b32 s0, 0x1852b7b0
	s_mov_b32 s1, 0x3f56c16c
	;; [unrolled: 10-line block ×4, first 2 shown]
	v_fma_f64 v[5:6], v[0:1], v[7:8], -v[5:6]
	v_fma_f64 v[14:15], v[12:13], v[14:15], s[0:1]
	s_mov_b32 s0, 0x53fcdb4c
	s_mov_b32 s1, 0xbf83fda0
	v_add_f64 v[5:6], v[5:6], s[0:1]
	s_mov_b32 s0, 0xb55b1514
	s_mov_b32 s1, 0x3fe8ea18
	v_fma_f64 v[14:15], v[12:13], v[14:15], 1.0
	v_fma_f64 v[0:1], v[0:1], v[5:6], -v[7:8]
	v_fma_f64 v[5:6], v[12:13], v[14:15], 1.0
	v_add_f64 v[0:1], v[0:1], s[0:1]
	s_mov_b32 s0, 0
	s_mov_b32 s1, 0x40900000
	v_ldexp_f64 v[5:6], v[5:6], v9
	v_cmp_ngt_f64_e64 s[0:1], |v[3:4]|, s[0:1]
	v_mov_b32_e32 v9, 0x7ff00000
	v_add_f64 v[7:8], v[0:1], -v[7:8]
                                        ; implicit-def: $vgpr0_vgpr1
	v_cndmask_b32_e64 v6, v9, v6, s[0:1]
	v_cndmask_b32_e64 v5, 0, v5, s[0:1]
	s_and_saveexec_b64 s[0:1], vcc
	s_xor_b64 s[0:1], exec, s[0:1]
	s_cbranch_execz .LBB9_34
; %bb.33:
	s_mov_b32 s10, 0
	s_brev_b32 s11, 8
	v_cmp_lt_f64_e64 vcc, |v[3:4]|, s[10:11]
	v_mov_b32_e32 v0, 0x100
	v_mul_f64 v[7:8], v[7:8], 0.5
	v_cndmask_b32_e32 v0, 0, v0, vcc
	v_ldexp_f64 v[0:1], |v[3:4]|, v0
	v_mul_f64 v[5:6], v[5:6], v[7:8]
	v_rsq_f64_e32 v[3:4], v[0:1]
	v_mul_f64 v[9:10], v[0:1], v[3:4]
	v_mul_f64 v[3:4], v[3:4], 0.5
	v_fma_f64 v[12:13], -v[3:4], v[9:10], 0.5
	v_fma_f64 v[9:10], v[9:10], v[12:13], v[9:10]
	v_fma_f64 v[3:4], v[3:4], v[12:13], v[3:4]
	v_fma_f64 v[12:13], -v[9:10], v[9:10], v[0:1]
	v_fma_f64 v[9:10], v[12:13], v[3:4], v[9:10]
	v_fma_f64 v[12:13], -v[9:10], v[9:10], v[0:1]
	v_fma_f64 v[3:4], v[12:13], v[3:4], v[9:10]
	v_mov_b32_e32 v9, 0xffffff80
	v_mov_b32_e32 v10, 0x260
	v_cndmask_b32_e32 v9, 0, v9, vcc
	v_cmp_class_f64_e32 vcc, v[0:1], v10
	v_ldexp_f64 v[3:4], v[3:4], v9
	v_cndmask_b32_e32 v1, v4, v1, vcc
	v_cndmask_b32_e32 v0, v3, v0, vcc
	v_div_scale_f64 v[3:4], s[10:11], v[0:1], v[0:1], v[5:6]
	v_div_scale_f64 v[12:13], vcc, v[5:6], v[0:1], v[5:6]
	v_rcp_f64_e32 v[7:8], v[3:4]
	v_fma_f64 v[9:10], -v[3:4], v[7:8], 1.0
	v_fma_f64 v[7:8], v[7:8], v[9:10], v[7:8]
	v_fma_f64 v[9:10], -v[3:4], v[7:8], 1.0
	v_fma_f64 v[7:8], v[7:8], v[9:10], v[7:8]
	v_mul_f64 v[9:10], v[12:13], v[7:8]
	v_fma_f64 v[3:4], -v[3:4], v[9:10], v[12:13]
	v_div_fmas_f64 v[3:4], v[3:4], v[7:8], v[9:10]
                                        ; implicit-def: $vgpr7_vgpr8
	v_div_fixup_f64 v[0:1], v[3:4], v[0:1], v[5:6]
                                        ; implicit-def: $vgpr3_vgpr4
                                        ; implicit-def: $vgpr5_vgpr6
.LBB9_34:
	s_andn2_saveexec_b64 s[0:1], s[0:1]
	s_cbranch_execz .LBB9_36
; %bb.35:
	s_mov_b32 s10, 0
	s_brev_b32 s11, 8
	v_cmp_lt_f64_e64 vcc, |v[3:4]|, s[10:11]
	v_mov_b32_e32 v0, 0x100
	v_mul_f64 v[7:8], v[7:8], -0.5
	v_cndmask_b32_e32 v0, 0, v0, vcc
	v_ldexp_f64 v[0:1], |v[3:4]|, v0
	v_mul_f64 v[5:6], v[5:6], v[7:8]
	v_rsq_f64_e32 v[3:4], v[0:1]
	v_mul_f64 v[9:10], v[0:1], v[3:4]
	v_mul_f64 v[3:4], v[3:4], 0.5
	v_fma_f64 v[12:13], -v[3:4], v[9:10], 0.5
	v_fma_f64 v[9:10], v[9:10], v[12:13], v[9:10]
	v_fma_f64 v[3:4], v[3:4], v[12:13], v[3:4]
	v_fma_f64 v[12:13], -v[9:10], v[9:10], v[0:1]
	v_fma_f64 v[9:10], v[12:13], v[3:4], v[9:10]
	v_fma_f64 v[12:13], -v[9:10], v[9:10], v[0:1]
	v_fma_f64 v[3:4], v[12:13], v[3:4], v[9:10]
	v_mov_b32_e32 v9, 0xffffff80
	v_mov_b32_e32 v10, 0x260
	v_cndmask_b32_e32 v9, 0, v9, vcc
	v_cmp_class_f64_e32 vcc, v[0:1], v10
	v_ldexp_f64 v[3:4], v[3:4], v9
	v_cndmask_b32_e32 v1, v4, v1, vcc
	v_cndmask_b32_e32 v0, v3, v0, vcc
	v_div_scale_f64 v[3:4], s[10:11], v[0:1], v[0:1], v[5:6]
	v_div_scale_f64 v[12:13], vcc, v[5:6], v[0:1], v[5:6]
	v_rcp_f64_e32 v[7:8], v[3:4]
	v_fma_f64 v[9:10], -v[3:4], v[7:8], 1.0
	v_fma_f64 v[7:8], v[7:8], v[9:10], v[7:8]
	v_fma_f64 v[9:10], -v[3:4], v[7:8], 1.0
	v_fma_f64 v[7:8], v[7:8], v[9:10], v[7:8]
	v_mul_f64 v[9:10], v[12:13], v[7:8]
	v_fma_f64 v[3:4], -v[3:4], v[9:10], v[12:13]
	v_div_fmas_f64 v[3:4], v[3:4], v[7:8], v[9:10]
	v_div_fixup_f64 v[0:1], v[3:4], v[0:1], v[5:6]
.LBB9_36:
	s_or_b64 exec, exec, s[0:1]
.LBB9_37:
	s_or_b64 exec, exec, s[8:9]
	v_mov_b32_e32 v3, s25
	s_and_b32 s14, s73, 0xff
	v_add_co_u32_e32 v4, vcc, s24, v2
	s_cmp_lt_i32 s14, 11
	v_addc_co_u32_e32 v5, vcc, 0, v3, vcc
	s_cbranch_scc1 .LBB9_45
; %bb.38:
	s_and_b32 s15, 0xffff, s14
	s_cmp_gt_i32 s15, 25
	s_cbranch_scc0 .LBB9_48
; %bb.39:
	s_cmp_gt_i32 s15, 28
	s_cbranch_scc0 .LBB9_50
; %bb.40:
	;; [unrolled: 3-line block ×4, first 2 shown]
	s_mov_b64 s[10:11], 0
	s_mov_b64 s[0:1], -1
	s_cmp_eq_u32 s15, 46
	s_mov_b64 s[8:9], 0
	s_cbranch_scc0 .LBB9_59
; %bb.43:
	v_cvt_f32_f64_e32 v2, v[0:1]
	s_movk_i32 s0, 0x7fff
	v_mov_b32_e32 v3, 0x7fc0
	s_mov_b64 s[8:9], -1
	v_bfe_u32 v6, v2, 16, 1
	v_cmp_o_f32_e32 vcc, v2, v2
	v_add3_u32 v2, v2, v6, s0
	v_cndmask_b32_sdwa v2, v3, v2, vcc dst_sel:DWORD dst_unused:UNUSED_PAD src0_sel:DWORD src1_sel:WORD_1
	global_store_dword v[4:5], v2, off
	s_mov_b64 s[0:1], 0
	s_branch .LBB9_59
.LBB9_44:
	s_mov_b64 s[2:3], 0
	s_mov_b64 s[0:1], 0
                                        ; implicit-def: $vgpr3_vgpr4
	s_cbranch_execnz .LBB9_195
	s_branch .LBB9_227
.LBB9_45:
	s_mov_b64 s[0:1], 0
	s_mov_b64 s[8:9], 0
	s_cbranch_execnz .LBB9_128
.LBB9_46:
	s_andn2_b64 vcc, exec, s[8:9]
	s_cbranch_vccnz .LBB9_276
	s_branch .LBB9_166
.LBB9_47:
	s_mov_b64 s[8:9], -1
	s_mov_b64 s[2:3], 0
	s_mov_b64 s[0:1], 0
                                        ; implicit-def: $vgpr3_vgpr4
	s_branch .LBB9_174
.LBB9_48:
	s_mov_b64 s[10:11], -1
	s_mov_b64 s[0:1], 0
	s_mov_b64 s[8:9], 0
	s_branch .LBB9_86
.LBB9_49:
	s_mov_b64 s[8:9], -1
	s_mov_b64 s[2:3], 0
	s_mov_b64 s[0:1], 0
                                        ; implicit-def: $vgpr3_vgpr4
	s_branch .LBB9_169
.LBB9_50:
	s_mov_b64 s[10:11], -1
	s_mov_b64 s[0:1], 0
	s_mov_b64 s[8:9], 0
	s_branch .LBB9_69
.LBB9_51:
	s_mov_b64 s[8:9], -1
	s_mov_b64 s[2:3], 0
	s_branch .LBB9_54
.LBB9_52:
	s_mov_b64 s[10:11], -1
	s_mov_b64 s[0:1], 0
	s_mov_b64 s[8:9], 0
	s_branch .LBB9_65
.LBB9_53:
	s_mov_b64 s[2:3], -1
.LBB9_54:
	s_mov_b64 s[0:1], 0
                                        ; implicit-def: $vgpr3_vgpr4
.LBB9_55:
	s_and_b64 vcc, exec, s[8:9]
	s_cbranch_vccz .LBB9_168
; %bb.56:
	s_cmp_eq_u32 s12, 44
	s_cbranch_scc0 .LBB9_167
; %bb.57:
	global_load_ubyte v5, v[0:1], off
	s_movk_i32 s2, 0xff
	v_bfrev_b32_e32 v6, 4
	v_mov_b32_e32 v7, 0x7ff80000
	v_bfrev_b32_e32 v8, 28
	s_mov_b64 s[0:1], -1
	s_waitcnt vmcnt(0)
	v_lshlrev_b32_e32 v3, 23, v5
	v_cvt_f64_f32_e32 v[3:4], v3
	v_cmp_ne_u32_e32 vcc, s2, v5
	s_mov_b64 s[2:3], 0
	v_cndmask_b32_e32 v3, v6, v3, vcc
	v_cndmask_b32_e32 v4, v7, v4, vcc
	v_cmp_ne_u32_e32 vcc, 0, v5
	v_cndmask_b32_e32 v4, v8, v4, vcc
	v_cndmask_b32_e32 v3, 0, v3, vcc
	s_branch .LBB9_168
.LBB9_58:
	s_mov_b64 s[10:11], -1
	s_mov_b64 s[0:1], 0
	s_mov_b64 s[8:9], 0
.LBB9_59:
	s_and_b64 vcc, exec, s[10:11]
	s_cbranch_vccz .LBB9_64
; %bb.60:
	s_cmp_eq_u32 s15, 44
	s_mov_b64 s[0:1], -1
	s_cbranch_scc0 .LBB9_64
; %bb.61:
	v_cvt_f32_f64_e32 v2, v[0:1]
	s_movk_i32 s0, 0xff
	v_mov_b32_e32 v6, 0xff
	v_bfe_u32 v3, v2, 23, 8
	v_cmp_ne_u32_e32 vcc, s0, v3
	s_and_saveexec_b64 s[8:9], vcc
; %bb.62:
	s_mov_b32 s0, 0x3fffff
	v_lshrrev_b32_e32 v6, 23, v2
	v_and_b32_e32 v7, 0x400000, v2
	v_and_or_b32 v2, v2, s0, v3
	v_cmp_ne_u32_e32 vcc, 0, v7
	v_cmp_ne_u32_e64 s[0:1], 0, v2
	s_and_b64 s[0:1], vcc, s[0:1]
	v_cndmask_b32_e64 v2, 0, 1, s[0:1]
	v_add_u32_e32 v6, v6, v2
; %bb.63:
	s_or_b64 exec, exec, s[8:9]
	s_mov_b64 s[8:9], -1
	s_mov_b64 s[0:1], 0
	global_store_byte v[4:5], v6, off
.LBB9_64:
	s_mov_b64 s[10:11], 0
.LBB9_65:
	s_and_b64 vcc, exec, s[10:11]
	s_cbranch_vccz .LBB9_68
; %bb.66:
	s_cmp_eq_u32 s15, 29
	s_mov_b64 s[0:1], -1
	s_cbranch_scc0 .LBB9_68
; %bb.67:
	v_trunc_f64_e32 v[2:3], v[0:1]
	s_movk_i32 s0, 0xffe0
	s_mov_b64 s[8:9], -1
	s_mov_b64 s[10:11], 0
	v_ldexp_f64 v[6:7], v[2:3], s0
	s_mov_b32 s0, 0
	s_mov_b32 s1, 0xc1f00000
	v_floor_f64_e32 v[6:7], v[6:7]
	v_fma_f64 v[2:3], v[6:7], s[0:1], v[2:3]
	v_cvt_u32_f64_e32 v7, v[6:7]
	s_mov_b64 s[0:1], 0
	v_cvt_u32_f64_e32 v6, v[2:3]
	global_store_dwordx2 v[4:5], v[6:7], off
	s_branch .LBB9_69
.LBB9_68:
	s_mov_b64 s[10:11], 0
.LBB9_69:
	s_and_b64 vcc, exec, s[10:11]
	s_cbranch_vccz .LBB9_85
; %bb.70:
	s_cmp_lt_i32 s15, 27
	s_mov_b64 s[8:9], -1
	s_cbranch_scc1 .LBB9_76
; %bb.71:
	v_cvt_u32_f64_e32 v2, v[0:1]
	s_cmp_gt_i32 s15, 27
	s_cbranch_scc0 .LBB9_73
; %bb.72:
	s_mov_b64 s[8:9], 0
	global_store_dword v[4:5], v2, off
.LBB9_73:
	s_andn2_b64 vcc, exec, s[8:9]
	s_cbranch_vccnz .LBB9_75
; %bb.74:
	global_store_short v[4:5], v2, off
.LBB9_75:
	s_mov_b64 s[8:9], 0
.LBB9_76:
	s_andn2_b64 vcc, exec, s[8:9]
	s_cbranch_vccnz .LBB9_84
; %bb.77:
	v_cvt_f32_f64_e32 v2, v[0:1]
	s_mov_b32 s8, 0x43800000
	v_mov_b32_e32 v6, 0x80
	v_and_b32_e32 v3, 0x7fffffff, v2
	v_cmp_gt_u32_e32 vcc, s8, v3
	s_and_saveexec_b64 s[8:9], vcc
	s_cbranch_execz .LBB9_83
; %bb.78:
	s_mov_b32 s10, 0x3bffffff
	v_cmp_lt_u32_e32 vcc, s10, v3
	s_mov_b64 s[10:11], 0
                                        ; implicit-def: $vgpr3
	s_and_saveexec_b64 s[12:13], vcc
	s_xor_b64 s[12:13], exec, s[12:13]
	s_cbranch_execz .LBB9_331
; %bb.79:
	v_bfe_u32 v3, v2, 20, 1
	s_mov_b32 s16, 0x487ffff
	v_add3_u32 v3, v2, v3, s16
	s_mov_b64 s[10:11], exec
	v_lshrrev_b32_e32 v3, 20, v3
	s_andn2_saveexec_b64 s[12:13], s[12:13]
	s_cbranch_execnz .LBB9_332
.LBB9_80:
	s_or_b64 exec, exec, s[12:13]
	v_mov_b32_e32 v6, 0
	s_and_saveexec_b64 s[12:13], s[10:11]
.LBB9_81:
	v_lshrrev_b32_e32 v2, 24, v2
	s_movk_i32 s10, 0x80
	v_and_or_b32 v6, v2, s10, v3
.LBB9_82:
	s_or_b64 exec, exec, s[12:13]
.LBB9_83:
	s_or_b64 exec, exec, s[8:9]
	global_store_byte v[4:5], v6, off
.LBB9_84:
	s_mov_b64 s[8:9], -1
.LBB9_85:
	s_mov_b64 s[10:11], 0
.LBB9_86:
	s_and_b64 vcc, exec, s[10:11]
	s_cbranch_vccz .LBB9_127
; %bb.87:
	s_cmp_gt_i32 s15, 22
	s_mov_b64 s[10:11], -1
	s_cbranch_scc0 .LBB9_119
; %bb.88:
	s_cmp_lt_i32 s15, 24
	s_mov_b64 s[8:9], -1
	s_cbranch_scc1 .LBB9_108
; %bb.89:
	s_cmp_gt_i32 s15, 24
	s_cbranch_scc0 .LBB9_97
; %bb.90:
	v_cvt_f32_f64_e32 v2, v[0:1]
	s_mov_b32 s8, 0x47800000
	v_mov_b32_e32 v6, 0x80
	v_and_b32_e32 v3, 0x7fffffff, v2
	v_cmp_gt_u32_e32 vcc, s8, v3
	s_and_saveexec_b64 s[8:9], vcc
	s_cbranch_execz .LBB9_96
; %bb.91:
	s_mov_b32 s10, 0x37ffffff
	v_cmp_lt_u32_e32 vcc, s10, v3
	s_mov_b64 s[10:11], 0
                                        ; implicit-def: $vgpr3
	s_and_saveexec_b64 s[12:13], vcc
	s_xor_b64 s[12:13], exec, s[12:13]
	s_cbranch_execz .LBB9_335
; %bb.92:
	v_bfe_u32 v3, v2, 21, 1
	s_mov_b32 s16, 0x88fffff
	v_add3_u32 v3, v2, v3, s16
	s_mov_b64 s[10:11], exec
	v_lshrrev_b32_e32 v3, 21, v3
	s_andn2_saveexec_b64 s[12:13], s[12:13]
	s_cbranch_execnz .LBB9_336
.LBB9_93:
	s_or_b64 exec, exec, s[12:13]
	v_mov_b32_e32 v6, 0
	s_and_saveexec_b64 s[12:13], s[10:11]
.LBB9_94:
	v_lshrrev_b32_e32 v2, 24, v2
	s_movk_i32 s10, 0x80
	v_and_or_b32 v6, v2, s10, v3
.LBB9_95:
	s_or_b64 exec, exec, s[12:13]
.LBB9_96:
	s_or_b64 exec, exec, s[8:9]
	s_mov_b64 s[8:9], 0
	global_store_byte v[4:5], v6, off
.LBB9_97:
	s_and_b64 vcc, exec, s[8:9]
	s_cbranch_vccz .LBB9_107
; %bb.98:
	v_cvt_f32_f64_e32 v2, v[0:1]
	s_mov_b32 s8, 0x43f00000
                                        ; implicit-def: $vgpr3
	v_and_b32_e32 v6, 0x7fffffff, v2
	v_cmp_gt_u32_e32 vcc, s8, v6
	s_and_saveexec_b64 s[8:9], vcc
	s_xor_b64 s[8:9], exec, s[8:9]
	s_cbranch_execz .LBB9_104
; %bb.99:
	s_mov_b32 s10, 0x3c7fffff
	v_cmp_lt_u32_e32 vcc, s10, v6
                                        ; implicit-def: $vgpr3
	s_and_saveexec_b64 s[10:11], vcc
	s_xor_b64 s[10:11], exec, s[10:11]
; %bb.100:
	v_bfe_u32 v3, v2, 20, 1
	s_mov_b32 s12, 0x407ffff
	v_add3_u32 v3, v2, v3, s12
	v_lshrrev_b32_e32 v6, 20, v3
	v_and_b32_e32 v3, 0xff00000, v3
	s_mov_b32 s12, 0x7f00000
	v_mov_b32_e32 v7, 0x7e
	v_cmp_ne_u32_e32 vcc, s12, v3
	v_cndmask_b32_e32 v3, v7, v6, vcc
; %bb.101:
	s_andn2_saveexec_b64 s[10:11], s[10:11]
; %bb.102:
	s_mov_b32 s12, 0x46800000
	v_add_f32_e64 v3, |v2|, s12
; %bb.103:
	s_or_b64 exec, exec, s[10:11]
                                        ; implicit-def: $vgpr6
.LBB9_104:
	s_andn2_saveexec_b64 s[8:9], s[8:9]
; %bb.105:
	s_mov_b32 s10, 0x7f800000
	v_mov_b32_e32 v3, 0x7e
	v_mov_b32_e32 v7, 0x7f
	v_cmp_lt_u32_e32 vcc, s10, v6
	v_cndmask_b32_e32 v3, v3, v7, vcc
; %bb.106:
	s_or_b64 exec, exec, s[8:9]
	v_lshrrev_b32_e32 v2, 24, v2
	s_movk_i32 s8, 0x80
	v_and_or_b32 v2, v2, s8, v3
	global_store_byte v[4:5], v2, off
.LBB9_107:
	s_mov_b64 s[8:9], 0
.LBB9_108:
	s_andn2_b64 vcc, exec, s[8:9]
	s_cbranch_vccnz .LBB9_118
; %bb.109:
	v_cvt_f32_f64_e32 v2, v[0:1]
	s_mov_b32 s8, 0x47800000
                                        ; implicit-def: $vgpr3
	v_and_b32_e32 v6, 0x7fffffff, v2
	v_cmp_gt_u32_e32 vcc, s8, v6
	s_and_saveexec_b64 s[8:9], vcc
	s_xor_b64 s[8:9], exec, s[8:9]
	s_cbranch_execz .LBB9_115
; %bb.110:
	s_mov_b32 s10, 0x387fffff
	v_cmp_lt_u32_e32 vcc, s10, v6
                                        ; implicit-def: $vgpr3
	s_and_saveexec_b64 s[10:11], vcc
	s_xor_b64 s[10:11], exec, s[10:11]
; %bb.111:
	v_bfe_u32 v3, v2, 21, 1
	s_mov_b32 s12, 0x80fffff
	v_add3_u32 v3, v2, v3, s12
	v_lshrrev_b32_e32 v3, 21, v3
; %bb.112:
	s_andn2_saveexec_b64 s[10:11], s[10:11]
; %bb.113:
	s_mov_b32 s12, 0x43000000
	v_add_f32_e64 v3, |v2|, s12
; %bb.114:
	s_or_b64 exec, exec, s[10:11]
                                        ; implicit-def: $vgpr6
.LBB9_115:
	s_andn2_saveexec_b64 s[8:9], s[8:9]
; %bb.116:
	s_mov_b32 s10, 0x7f800000
	v_mov_b32_e32 v3, 0x7c
	v_mov_b32_e32 v7, 0x7f
	v_cmp_lt_u32_e32 vcc, s10, v6
	v_cndmask_b32_e32 v3, v3, v7, vcc
; %bb.117:
	s_or_b64 exec, exec, s[8:9]
	v_lshrrev_b32_e32 v2, 24, v2
	s_movk_i32 s8, 0x80
	v_and_or_b32 v2, v2, s8, v3
	global_store_byte v[4:5], v2, off
.LBB9_118:
	s_mov_b64 s[10:11], 0
	s_mov_b64 s[8:9], -1
.LBB9_119:
	s_andn2_b64 vcc, exec, s[10:11]
	s_cbranch_vccnz .LBB9_127
; %bb.120:
	s_cmp_gt_i32 s15, 14
	s_mov_b64 s[10:11], -1
	s_cbranch_scc0 .LBB9_124
; %bb.121:
	s_cmp_eq_u32 s15, 15
	s_mov_b64 s[0:1], -1
	s_cbranch_scc0 .LBB9_123
; %bb.122:
	v_cvt_f32_f64_e32 v2, v[0:1]
	s_movk_i32 s0, 0x7fff
	v_mov_b32_e32 v3, 0x7fc0
	s_mov_b64 s[8:9], -1
	v_bfe_u32 v6, v2, 16, 1
	v_cmp_o_f32_e32 vcc, v2, v2
	v_add3_u32 v2, v2, v6, s0
	v_cndmask_b32_sdwa v2, v3, v2, vcc dst_sel:DWORD dst_unused:UNUSED_PAD src0_sel:DWORD src1_sel:WORD_1
	global_store_short v[4:5], v2, off
	s_mov_b64 s[0:1], 0
.LBB9_123:
	s_mov_b64 s[10:11], 0
.LBB9_124:
	s_and_b64 vcc, exec, s[10:11]
	s_cbranch_vccz .LBB9_127
; %bb.125:
	s_cmp_eq_u32 s15, 11
	s_mov_b64 s[0:1], -1
	s_cbranch_scc0 .LBB9_127
; %bb.126:
	v_cmp_neq_f64_e32 vcc, 0, v[0:1]
	s_mov_b64 s[0:1], 0
	s_mov_b64 s[8:9], -1
	v_cndmask_b32_e64 v2, 0, 1, vcc
	global_store_byte v[4:5], v2, off
.LBB9_127:
	s_branch .LBB9_46
.LBB9_128:
	s_and_b32 s10, 0xffff, s14
	s_cmp_lt_i32 s10, 5
	s_mov_b64 s[8:9], -1
	s_cbranch_scc1 .LBB9_149
; %bb.129:
	s_cmp_lt_i32 s10, 8
	s_cbranch_scc1 .LBB9_139
; %bb.130:
	s_cmp_lt_i32 s10, 9
	s_cbranch_scc1 .LBB9_136
; %bb.131:
	s_cmp_gt_i32 s10, 9
	s_cbranch_scc0 .LBB9_133
; %bb.132:
	v_mov_b32_e32 v2, 0
	v_mov_b32_e32 v3, v2
	global_store_dwordx4 v[4:5], v[0:3], off
	s_mov_b64 s[8:9], 0
.LBB9_133:
	s_andn2_b64 vcc, exec, s[8:9]
	s_cbranch_vccnz .LBB9_135
; %bb.134:
	v_cvt_f32_f64_e32 v2, v[0:1]
	v_mov_b32_e32 v3, 0
	global_store_dwordx2 v[4:5], v[2:3], off
.LBB9_135:
	s_mov_b64 s[8:9], 0
.LBB9_136:
	s_andn2_b64 vcc, exec, s[8:9]
	s_cbranch_vccnz .LBB9_138
; %bb.137:
	s_movk_i32 s8, 0x1ff
	v_and_or_b32 v2, v1, s8, v0
	v_cmp_ne_u32_e32 vcc, 0, v2
	v_cndmask_b32_e64 v2, 0, 1, vcc
	v_lshrrev_b32_e32 v3, 8, v1
	s_movk_i32 s8, 0xffe
	v_bfe_u32 v6, v1, 20, 11
	v_and_or_b32 v2, v3, s8, v2
	v_sub_u32_e32 v7, 0x3f1, v6
	v_or_b32_e32 v3, 0x1000, v2
	v_med3_i32 v7, v7, 0, 13
	v_lshrrev_b32_e32 v8, v7, v3
	v_lshlrev_b32_e32 v7, v7, v8
	v_cmp_ne_u32_e32 vcc, v7, v3
	v_cndmask_b32_e64 v3, 0, 1, vcc
	v_add_u32_e32 v6, 0xfffffc10, v6
	v_or_b32_e32 v3, v8, v3
	v_lshl_or_b32 v7, v6, 12, v2
	v_cmp_gt_i32_e32 vcc, 1, v6
	v_cndmask_b32_e32 v3, v7, v3, vcc
	v_and_b32_e32 v7, 7, v3
	v_cmp_lt_i32_e32 vcc, 5, v7
	v_cndmask_b32_e64 v8, 0, 1, vcc
	v_cmp_eq_u32_e32 vcc, 3, v7
	v_cndmask_b32_e64 v7, 0, 1, vcc
	v_or_b32_e32 v7, v7, v8
	v_lshrrev_b32_e32 v3, 2, v3
	v_add_u32_e32 v3, v3, v7
	v_mov_b32_e32 v7, 0x7c00
	v_cmp_gt_i32_e32 vcc, 31, v6
	v_cndmask_b32_e32 v3, v7, v3, vcc
	v_mov_b32_e32 v8, 0x7e00
	v_cmp_ne_u32_e32 vcc, 0, v2
	s_movk_i32 s8, 0x40f
	v_cndmask_b32_e32 v2, v7, v8, vcc
	v_cmp_eq_u32_e32 vcc, s8, v6
	v_cndmask_b32_e32 v2, v3, v2, vcc
	v_lshrrev_b32_e32 v3, 16, v1
	s_mov_b32 s8, 0x8000
	v_and_or_b32 v2, v3, s8, v2
	v_and_b32_e32 v2, 0xffff, v2
	global_store_dword v[4:5], v2, off
.LBB9_138:
	s_mov_b64 s[8:9], 0
.LBB9_139:
	s_andn2_b64 vcc, exec, s[8:9]
	s_cbranch_vccnz .LBB9_148
; %bb.140:
	s_cmp_lt_i32 s10, 6
	s_mov_b64 s[8:9], -1
	s_cbranch_scc1 .LBB9_146
; %bb.141:
	s_cmp_gt_i32 s10, 6
	s_cbranch_scc0 .LBB9_143
; %bb.142:
	global_store_dwordx2 v[4:5], v[0:1], off
	s_mov_b64 s[8:9], 0
.LBB9_143:
	s_andn2_b64 vcc, exec, s[8:9]
	s_cbranch_vccnz .LBB9_145
; %bb.144:
	v_cvt_f32_f64_e32 v2, v[0:1]
	global_store_dword v[4:5], v2, off
.LBB9_145:
	s_mov_b64 s[8:9], 0
.LBB9_146:
	s_andn2_b64 vcc, exec, s[8:9]
	s_cbranch_vccnz .LBB9_148
; %bb.147:
	s_movk_i32 s8, 0x1ff
	v_and_or_b32 v2, v1, s8, v0
	v_cmp_ne_u32_e32 vcc, 0, v2
	v_cndmask_b32_e64 v2, 0, 1, vcc
	v_lshrrev_b32_e32 v3, 8, v1
	s_movk_i32 s8, 0xffe
	v_bfe_u32 v6, v1, 20, 11
	v_and_or_b32 v2, v3, s8, v2
	v_sub_u32_e32 v7, 0x3f1, v6
	v_or_b32_e32 v3, 0x1000, v2
	v_med3_i32 v7, v7, 0, 13
	v_lshrrev_b32_e32 v8, v7, v3
	v_lshlrev_b32_e32 v7, v7, v8
	v_cmp_ne_u32_e32 vcc, v7, v3
	v_cndmask_b32_e64 v3, 0, 1, vcc
	v_add_u32_e32 v6, 0xfffffc10, v6
	v_or_b32_e32 v3, v8, v3
	v_lshl_or_b32 v7, v6, 12, v2
	v_cmp_gt_i32_e32 vcc, 1, v6
	v_cndmask_b32_e32 v3, v7, v3, vcc
	v_and_b32_e32 v7, 7, v3
	v_cmp_lt_i32_e32 vcc, 5, v7
	v_cndmask_b32_e64 v8, 0, 1, vcc
	v_cmp_eq_u32_e32 vcc, 3, v7
	v_cndmask_b32_e64 v7, 0, 1, vcc
	v_or_b32_e32 v7, v7, v8
	v_lshrrev_b32_e32 v3, 2, v3
	v_add_u32_e32 v3, v3, v7
	v_mov_b32_e32 v7, 0x7c00
	v_cmp_gt_i32_e32 vcc, 31, v6
	v_cndmask_b32_e32 v3, v7, v3, vcc
	v_mov_b32_e32 v8, 0x7e00
	v_cmp_ne_u32_e32 vcc, 0, v2
	s_movk_i32 s8, 0x40f
	v_cndmask_b32_e32 v2, v7, v8, vcc
	v_cmp_eq_u32_e32 vcc, s8, v6
	v_cndmask_b32_e32 v2, v3, v2, vcc
	v_lshrrev_b32_e32 v3, 16, v1
	s_mov_b32 s8, 0x8000
	v_and_or_b32 v2, v3, s8, v2
	global_store_short v[4:5], v2, off
.LBB9_148:
	s_mov_b64 s[8:9], 0
.LBB9_149:
	s_andn2_b64 vcc, exec, s[8:9]
	s_cbranch_vccnz .LBB9_165
; %bb.150:
	s_cmp_lt_i32 s10, 2
	s_mov_b64 s[8:9], -1
	s_cbranch_scc1 .LBB9_160
; %bb.151:
	s_cmp_lt_i32 s10, 3
	s_cbranch_scc1 .LBB9_157
; %bb.152:
	s_cmp_gt_i32 s10, 3
	s_cbranch_scc0 .LBB9_154
; %bb.153:
	v_trunc_f64_e32 v[2:3], v[0:1]
	s_movk_i32 s8, 0xffe0
	v_ldexp_f64 v[6:7], v[2:3], s8
	s_mov_b32 s8, 0
	s_mov_b32 s9, 0xc1f00000
	v_floor_f64_e32 v[6:7], v[6:7]
	v_fma_f64 v[2:3], v[6:7], s[8:9], v[2:3]
	v_cvt_i32_f64_e32 v7, v[6:7]
	s_mov_b64 s[8:9], 0
	v_cvt_u32_f64_e32 v6, v[2:3]
	global_store_dwordx2 v[4:5], v[6:7], off
.LBB9_154:
	s_andn2_b64 vcc, exec, s[8:9]
	s_cbranch_vccnz .LBB9_156
; %bb.155:
	v_cvt_i32_f64_e32 v2, v[0:1]
	global_store_dword v[4:5], v2, off
.LBB9_156:
	s_mov_b64 s[8:9], 0
.LBB9_157:
	s_andn2_b64 vcc, exec, s[8:9]
	s_cbranch_vccnz .LBB9_159
; %bb.158:
	v_cvt_i32_f64_e32 v2, v[0:1]
	global_store_short v[4:5], v2, off
.LBB9_159:
	s_mov_b64 s[8:9], 0
.LBB9_160:
	s_andn2_b64 vcc, exec, s[8:9]
	s_cbranch_vccnz .LBB9_165
; %bb.161:
	s_cmp_gt_i32 s10, 0
	s_mov_b64 s[8:9], -1
	s_cbranch_scc0 .LBB9_163
; %bb.162:
	v_cvt_i32_f64_e32 v2, v[0:1]
	s_mov_b64 s[8:9], 0
	global_store_byte v[4:5], v2, off
.LBB9_163:
	s_andn2_b64 vcc, exec, s[8:9]
	s_cbranch_vccnz .LBB9_165
; %bb.164:
	v_trunc_f64_e32 v[0:1], v[0:1]
	s_movk_i32 s8, 0xffe0
	v_ldexp_f64 v[2:3], v[0:1], s8
	s_mov_b32 s8, 0
	s_mov_b32 s9, 0xc1f00000
	v_floor_f64_e32 v[2:3], v[2:3]
	v_fma_f64 v[0:1], v[2:3], s[8:9], v[0:1]
	v_cvt_u32_f64_e32 v0, v[0:1]
	global_store_byte v[4:5], v0, off
.LBB9_165:
.LBB9_166:
	v_add_u32_e32 v11, 0x80, v11
	s_mov_b64 s[8:9], -1
	s_branch .LBB9_277
.LBB9_167:
	s_mov_b64 s[2:3], -1
                                        ; implicit-def: $vgpr3_vgpr4
.LBB9_168:
	s_mov_b64 s[8:9], 0
.LBB9_169:
	s_and_b64 vcc, exec, s[8:9]
	s_cbranch_vccz .LBB9_173
; %bb.170:
	s_cmp_eq_u32 s12, 29
	s_cbranch_scc0 .LBB9_172
; %bb.171:
	global_load_dwordx2 v[3:4], v[0:1], off
	s_mov_b64 s[0:1], -1
	s_mov_b64 s[2:3], 0
	s_mov_b64 s[8:9], 0
	s_waitcnt vmcnt(0)
	v_cvt_f64_u32_e32 v[4:5], v4
	v_cvt_f64_u32_e32 v[6:7], v3
	v_ldexp_f64 v[4:5], v[4:5], 32
	v_add_f64 v[3:4], v[4:5], v[6:7]
	s_branch .LBB9_174
.LBB9_172:
	s_mov_b64 s[2:3], -1
                                        ; implicit-def: $vgpr3_vgpr4
.LBB9_173:
	s_mov_b64 s[8:9], 0
.LBB9_174:
	s_and_b64 vcc, exec, s[8:9]
	s_cbranch_vccz .LBB9_194
; %bb.175:
	s_cmp_lt_i32 s12, 27
	s_cbranch_scc1 .LBB9_178
; %bb.176:
	s_cmp_gt_i32 s12, 27
	s_cbranch_scc0 .LBB9_179
; %bb.177:
	global_load_dword v3, v[0:1], off
	s_mov_b64 s[0:1], 0
	s_waitcnt vmcnt(0)
	v_cvt_f64_u32_e32 v[3:4], v3
	s_branch .LBB9_180
.LBB9_178:
	s_mov_b64 s[0:1], -1
                                        ; implicit-def: $vgpr3_vgpr4
	s_branch .LBB9_183
.LBB9_179:
	s_mov_b64 s[0:1], -1
                                        ; implicit-def: $vgpr3_vgpr4
.LBB9_180:
	s_andn2_b64 vcc, exec, s[0:1]
	s_cbranch_vccnz .LBB9_182
; %bb.181:
	global_load_ushort v3, v[0:1], off
	s_waitcnt vmcnt(0)
	v_cvt_f64_u32_e32 v[3:4], v3
.LBB9_182:
	s_mov_b64 s[0:1], 0
.LBB9_183:
	s_andn2_b64 vcc, exec, s[0:1]
	s_cbranch_vccnz .LBB9_193
; %bb.184:
	global_load_ubyte v5, v[0:1], off
	s_movk_i32 s0, 0x7f
	s_waitcnt vmcnt(0)
	v_cmp_lt_i16_e32 vcc, s0, v5
	s_mov_b64 s[0:1], 0
	s_and_saveexec_b64 s[8:9], vcc
	s_xor_b64 s[8:9], exec, s[8:9]
	s_cbranch_execz .LBB9_188
; %bb.185:
	s_movk_i32 s0, 0x80
	v_cmp_eq_u16_e32 vcc, s0, v5
	s_mov_b64 s[0:1], -1
	s_and_saveexec_b64 s[10:11], vcc
; %bb.186:
	s_xor_b64 s[0:1], exec, -1
; %bb.187:
	s_or_b64 exec, exec, s[10:11]
	s_and_b64 s[0:1], s[0:1], exec
.LBB9_188:
	s_or_saveexec_b64 s[8:9], s[8:9]
	v_bfrev_b32_e32 v3, 4
	v_mov_b32_e32 v4, 0x7ff80000
	s_xor_b64 exec, exec, s[8:9]
; %bb.189:
	v_cmp_ne_u16_e32 vcc, 0, v5
	v_mov_b32_e32 v3, 0
	s_andn2_b64 s[0:1], s[0:1], exec
	s_and_b64 s[10:11], vcc, exec
	v_mov_b32_e32 v4, 0
	s_or_b64 s[0:1], s[0:1], s[10:11]
; %bb.190:
	s_or_b64 exec, exec, s[8:9]
	s_and_saveexec_b64 s[8:9], s[0:1]
	s_cbranch_execz .LBB9_192
; %bb.191:
	v_and_b32_e32 v4, 0xffff, v5
	v_lshlrev_b32_e32 v3, 24, v5
	v_and_b32_e32 v5, 7, v4
	v_ffbh_u32_e32 v7, v5
	v_min_u32_e32 v7, 32, v7
	v_subrev_u32_e32 v8, 28, v7
	v_bfe_u32 v6, v4, 3, 4
	v_lshlrev_b32_e32 v4, v8, v4
	v_sub_u32_e32 v7, 29, v7
	v_and_b32_e32 v4, 7, v4
	v_cmp_eq_u32_e32 vcc, 0, v6
	v_cndmask_b32_e32 v6, v6, v7, vcc
	v_cndmask_b32_e32 v4, v5, v4, vcc
	v_mov_b32_e32 v5, 0x3b800000
	v_lshlrev_b32_e32 v4, 20, v4
	v_and_b32_e32 v3, 0x80000000, v3
	v_lshl_add_u32 v5, v6, 23, v5
	v_or3_b32 v3, v3, v5, v4
	v_cvt_f64_f32_e32 v[3:4], v3
.LBB9_192:
	s_or_b64 exec, exec, s[8:9]
.LBB9_193:
	s_mov_b64 s[0:1], -1
.LBB9_194:
	s_branch .LBB9_227
.LBB9_195:
	s_cmp_gt_i32 s12, 22
	s_cbranch_scc0 .LBB9_207
; %bb.196:
	s_cmp_lt_i32 s12, 24
	s_cbranch_scc1 .LBB9_208
; %bb.197:
	s_cmp_gt_i32 s12, 24
	s_cbranch_scc0 .LBB9_209
; %bb.198:
	global_load_ubyte v5, v[0:1], off
	s_movk_i32 s0, 0x7f
	s_waitcnt vmcnt(0)
	v_cmp_lt_i16_e32 vcc, s0, v5
	s_mov_b64 s[0:1], 0
	s_and_saveexec_b64 s[8:9], vcc
	s_xor_b64 s[8:9], exec, s[8:9]
	s_cbranch_execz .LBB9_202
; %bb.199:
	s_movk_i32 s0, 0x80
	v_cmp_eq_u16_e32 vcc, s0, v5
	s_mov_b64 s[0:1], -1
	s_and_saveexec_b64 s[10:11], vcc
; %bb.200:
	s_xor_b64 s[0:1], exec, -1
; %bb.201:
	s_or_b64 exec, exec, s[10:11]
	s_and_b64 s[0:1], s[0:1], exec
.LBB9_202:
	s_or_saveexec_b64 s[8:9], s[8:9]
	v_bfrev_b32_e32 v3, 4
	v_mov_b32_e32 v4, 0x7ff80000
	s_xor_b64 exec, exec, s[8:9]
; %bb.203:
	v_cmp_ne_u16_e32 vcc, 0, v5
	v_mov_b32_e32 v3, 0
	s_andn2_b64 s[0:1], s[0:1], exec
	s_and_b64 s[10:11], vcc, exec
	v_mov_b32_e32 v4, 0
	s_or_b64 s[0:1], s[0:1], s[10:11]
; %bb.204:
	s_or_b64 exec, exec, s[8:9]
	s_and_saveexec_b64 s[8:9], s[0:1]
	s_cbranch_execz .LBB9_206
; %bb.205:
	v_and_b32_e32 v4, 0xffff, v5
	v_lshlrev_b32_e32 v3, 24, v5
	v_and_b32_e32 v5, 3, v4
	v_ffbh_u32_e32 v7, v5
	v_min_u32_e32 v7, 32, v7
	v_subrev_u32_e32 v8, 29, v7
	v_bfe_u32 v6, v4, 2, 5
	v_lshlrev_b32_e32 v4, v8, v4
	v_sub_u32_e32 v7, 30, v7
	v_and_b32_e32 v4, 3, v4
	v_cmp_eq_u32_e32 vcc, 0, v6
	v_cndmask_b32_e32 v6, v6, v7, vcc
	v_cndmask_b32_e32 v4, v5, v4, vcc
	v_mov_b32_e32 v5, 0x37800000
	v_lshlrev_b32_e32 v4, 21, v4
	v_and_b32_e32 v3, 0x80000000, v3
	v_lshl_add_u32 v5, v6, 23, v5
	v_or3_b32 v3, v3, v5, v4
	v_cvt_f64_f32_e32 v[3:4], v3
.LBB9_206:
	s_or_b64 exec, exec, s[8:9]
	s_mov_b64 s[0:1], 0
	s_branch .LBB9_210
.LBB9_207:
	s_mov_b64 s[8:9], -1
                                        ; implicit-def: $vgpr3_vgpr4
	s_branch .LBB9_216
.LBB9_208:
	s_mov_b64 s[0:1], -1
                                        ; implicit-def: $vgpr3_vgpr4
	s_branch .LBB9_213
.LBB9_209:
	s_mov_b64 s[0:1], -1
                                        ; implicit-def: $vgpr3_vgpr4
.LBB9_210:
	s_and_b64 vcc, exec, s[0:1]
	s_cbranch_vccz .LBB9_212
; %bb.211:
	global_load_ubyte v3, v[0:1], off
	s_mov_b32 s0, 0x7f800000
	s_waitcnt vmcnt(0)
	v_lshlrev_b32_e32 v3, 24, v3
	v_and_b32_e32 v4, 0x7f000000, v3
	v_ffbh_u32_e32 v5, v4
	v_min_u32_e32 v5, 32, v5
	v_sub_u32_e64 v5, v5, 4 clamp
	v_lshlrev_b32_e32 v7, v5, v4
	v_lshlrev_b32_e32 v5, 23, v5
	v_lshrrev_b32_e32 v7, 4, v7
	v_add_u32_e32 v6, 0x1000000, v4
	v_sub_u32_e32 v5, v7, v5
	v_ashrrev_i32_e32 v6, 8, v6
	v_add_u32_e32 v5, 0x3c000000, v5
	v_and_or_b32 v5, v6, s0, v5
	v_cmp_ne_u32_e32 vcc, 0, v4
	v_cndmask_b32_e32 v4, 0, v5, vcc
	s_brev_b32 s0, 1
	v_and_or_b32 v3, v3, s0, v4
	v_cvt_f64_f32_e32 v[3:4], v3
.LBB9_212:
	s_mov_b64 s[0:1], 0
.LBB9_213:
	s_andn2_b64 vcc, exec, s[0:1]
	s_cbranch_vccnz .LBB9_215
; %bb.214:
	global_load_ubyte v3, v[0:1], off
	s_movk_i32 s0, 0x7f00
	s_brev_b32 s1, 16
	s_waitcnt vmcnt(0)
	v_lshlrev_b16_e32 v4, 8, v3
	v_lshlrev_b32_e32 v3, 25, v3
	v_lshrrev_b32_e32 v5, 4, v3
	v_and_or_b32 v6, v4, s0, 0.5
	v_or_b32_e32 v5, 0x70000000, v5
	v_add_f32_e32 v6, -0.5, v6
	v_mul_f32_e32 v5, 0x7800000, v5
	v_cmp_gt_u32_e32 vcc, s1, v3
	v_bfe_i32 v4, v4, 0, 16
	v_cndmask_b32_e32 v3, v5, v6, vcc
	s_brev_b32 s0, 1
	v_and_or_b32 v3, v4, s0, v3
	v_cvt_f64_f32_e32 v[3:4], v3
.LBB9_215:
	s_mov_b64 s[8:9], 0
	s_mov_b64 s[0:1], -1
.LBB9_216:
	s_andn2_b64 vcc, exec, s[8:9]
	s_cbranch_vccnz .LBB9_227
; %bb.217:
	s_cmp_gt_i32 s12, 14
	s_cbranch_scc0 .LBB9_220
; %bb.218:
	s_cmp_eq_u32 s12, 15
	s_cbranch_scc0 .LBB9_221
; %bb.219:
	global_load_ushort v3, v[0:1], off
	s_mov_b64 s[0:1], -1
	s_mov_b64 s[2:3], 0
	s_waitcnt vmcnt(0)
	v_lshlrev_b32_e32 v3, 16, v3
	v_cvt_f64_f32_e32 v[3:4], v3
	s_branch .LBB9_222
.LBB9_220:
	s_mov_b64 s[8:9], -1
                                        ; implicit-def: $vgpr3_vgpr4
	s_branch .LBB9_223
.LBB9_221:
	s_mov_b64 s[2:3], -1
                                        ; implicit-def: $vgpr3_vgpr4
.LBB9_222:
	s_mov_b64 s[8:9], 0
.LBB9_223:
	s_and_b64 vcc, exec, s[8:9]
	s_cbranch_vccz .LBB9_227
; %bb.224:
	s_cmp_eq_u32 s12, 11
	s_cbranch_scc0 .LBB9_226
; %bb.225:
	global_load_ubyte v4, v[0:1], off
	v_mov_b32_e32 v5, 0x3ff00000
	v_mov_b32_e32 v3, 0
	s_mov_b64 s[0:1], -1
	s_mov_b64 s[2:3], 0
	s_waitcnt vmcnt(0)
	v_cmp_ne_u16_e32 vcc, 0, v4
	v_cndmask_b32_e32 v4, 0, v5, vcc
	s_branch .LBB9_227
.LBB9_226:
	s_mov_b64 s[2:3], -1
                                        ; implicit-def: $vgpr3_vgpr4
.LBB9_227:
	s_branch .LBB9_24
.LBB9_228:
	s_cmp_lt_i32 s12, 5
	s_cbranch_scc1 .LBB9_233
; %bb.229:
	s_cmp_lt_i32 s12, 8
	s_cbranch_scc1 .LBB9_234
; %bb.230:
	;; [unrolled: 3-line block ×3, first 2 shown]
	s_cmp_gt_i32 s12, 9
	s_cbranch_scc0 .LBB9_236
; %bb.232:
	global_load_dwordx2 v[3:4], v[0:1], off
	s_mov_b64 s[0:1], 0
	s_branch .LBB9_237
.LBB9_233:
                                        ; implicit-def: $vgpr3_vgpr4
	s_branch .LBB9_255
.LBB9_234:
	s_mov_b64 s[0:1], -1
                                        ; implicit-def: $vgpr3_vgpr4
	s_branch .LBB9_243
.LBB9_235:
	s_mov_b64 s[0:1], -1
                                        ; implicit-def: $vgpr3_vgpr4
	s_branch .LBB9_240
.LBB9_236:
	s_mov_b64 s[0:1], -1
                                        ; implicit-def: $vgpr3_vgpr4
.LBB9_237:
	s_andn2_b64 vcc, exec, s[0:1]
	s_cbranch_vccnz .LBB9_239
; %bb.238:
	global_load_dword v3, v[0:1], off
	s_waitcnt vmcnt(0)
	v_cvt_f64_f32_e32 v[3:4], v3
.LBB9_239:
	s_mov_b64 s[0:1], 0
.LBB9_240:
	s_andn2_b64 vcc, exec, s[0:1]
	s_cbranch_vccnz .LBB9_242
; %bb.241:
	global_load_dword v3, v[0:1], off
	s_waitcnt vmcnt(0)
	v_cvt_f32_f16_e32 v3, v3
	v_cvt_f64_f32_e32 v[3:4], v3
.LBB9_242:
	s_mov_b64 s[0:1], 0
.LBB9_243:
	s_andn2_b64 vcc, exec, s[0:1]
	s_cbranch_vccnz .LBB9_254
; %bb.244:
	s_cmp_lt_i32 s12, 6
	s_cbranch_scc1 .LBB9_247
; %bb.245:
	s_cmp_gt_i32 s12, 6
	s_cbranch_scc0 .LBB9_248
; %bb.246:
	global_load_dwordx2 v[3:4], v[0:1], off
	s_mov_b64 s[0:1], 0
	s_branch .LBB9_249
.LBB9_247:
	s_mov_b64 s[0:1], -1
                                        ; implicit-def: $vgpr3_vgpr4
	s_branch .LBB9_252
.LBB9_248:
	s_mov_b64 s[0:1], -1
                                        ; implicit-def: $vgpr3_vgpr4
.LBB9_249:
	s_andn2_b64 vcc, exec, s[0:1]
	s_cbranch_vccnz .LBB9_251
; %bb.250:
	global_load_dword v3, v[0:1], off
	s_waitcnt vmcnt(0)
	v_cvt_f64_f32_e32 v[3:4], v3
.LBB9_251:
	s_mov_b64 s[0:1], 0
.LBB9_252:
	s_andn2_b64 vcc, exec, s[0:1]
	s_cbranch_vccnz .LBB9_254
; %bb.253:
	global_load_ushort v3, v[0:1], off
	s_waitcnt vmcnt(0)
	v_cvt_f32_f16_e32 v3, v3
	v_cvt_f64_f32_e32 v[3:4], v3
.LBB9_254:
	s_cbranch_execnz .LBB9_274
.LBB9_255:
	s_cmp_lt_i32 s12, 2
	s_cbranch_scc1 .LBB9_259
; %bb.256:
	s_cmp_lt_i32 s12, 3
	s_cbranch_scc1 .LBB9_260
; %bb.257:
	s_cmp_gt_i32 s12, 3
	s_cbranch_scc0 .LBB9_261
; %bb.258:
	global_load_dwordx2 v[3:4], v[0:1], off
	s_mov_b64 s[0:1], 0
	s_waitcnt vmcnt(0)
	v_cvt_f64_i32_e32 v[4:5], v4
	v_cvt_f64_u32_e32 v[6:7], v3
	v_ldexp_f64 v[4:5], v[4:5], 32
	v_add_f64 v[3:4], v[4:5], v[6:7]
	s_branch .LBB9_262
.LBB9_259:
	s_mov_b64 s[0:1], -1
                                        ; implicit-def: $vgpr3_vgpr4
	s_branch .LBB9_268
.LBB9_260:
	s_mov_b64 s[0:1], -1
                                        ; implicit-def: $vgpr3_vgpr4
	s_branch .LBB9_265
.LBB9_261:
	s_mov_b64 s[0:1], -1
                                        ; implicit-def: $vgpr3_vgpr4
.LBB9_262:
	s_andn2_b64 vcc, exec, s[0:1]
	s_cbranch_vccnz .LBB9_264
; %bb.263:
	global_load_dword v3, v[0:1], off
	s_waitcnt vmcnt(0)
	v_cvt_f64_i32_e32 v[3:4], v3
.LBB9_264:
	s_mov_b64 s[0:1], 0
.LBB9_265:
	s_andn2_b64 vcc, exec, s[0:1]
	s_cbranch_vccnz .LBB9_267
; %bb.266:
	global_load_sshort v3, v[0:1], off
	s_waitcnt vmcnt(0)
	v_cvt_f64_i32_e32 v[3:4], v3
.LBB9_267:
	s_mov_b64 s[0:1], 0
.LBB9_268:
	s_andn2_b64 vcc, exec, s[0:1]
	s_cbranch_vccnz .LBB9_274
; %bb.269:
	s_cmp_gt_i32 s12, 0
	s_cbranch_scc0 .LBB9_271
; %bb.270:
	global_load_sbyte v3, v[0:1], off
	s_mov_b64 s[0:1], 0
	s_waitcnt vmcnt(0)
	v_cvt_f64_i32_e32 v[3:4], v3
	s_branch .LBB9_272
.LBB9_271:
	s_mov_b64 s[0:1], -1
                                        ; implicit-def: $vgpr3_vgpr4
.LBB9_272:
	s_andn2_b64 vcc, exec, s[0:1]
	s_cbranch_vccnz .LBB9_274
; %bb.273:
	global_load_ubyte v0, v[0:1], off
	s_waitcnt vmcnt(0)
	v_cvt_f64_u32_e32 v[3:4], v0
.LBB9_274:
	s_branch .LBB9_25
.LBB9_275:
	s_mov_b64 s[0:1], 0
.LBB9_276:
	s_mov_b64 s[8:9], 0
                                        ; implicit-def: $vgpr11
.LBB9_277:
	s_and_b64 s[52:53], s[0:1], exec
	s_and_b64 s[54:55], s[2:3], exec
	s_orn2_b64 s[2:3], s[8:9], exec
.LBB9_278:
	s_or_b64 exec, exec, s[56:57]
	s_mov_b64 s[10:11], 0
	s_mov_b64 s[0:1], 0
                                        ; implicit-def: $vgpr0_vgpr1
                                        ; implicit-def: $vgpr2
                                        ; implicit-def: $vgpr3_vgpr4
	s_and_saveexec_b64 s[56:57], s[2:3]
	s_cbranch_execz .LBB9_285
; %bb.279:
	v_cmp_gt_i32_e32 vcc, s70, v11
	s_mov_b64 s[0:1], -1
	s_mov_b64 s[58:59], s[54:55]
	s_mov_b64 s[60:61], s[52:53]
	s_and_saveexec_b64 s[62:63], vcc
	s_cbranch_execz .LBB9_566
; %bb.280:
	s_andn2_b64 vcc, exec, s[40:41]
	s_cbranch_vccnz .LBB9_288
; %bb.281:
	s_andn2_b64 vcc, exec, s[50:51]
	s_cbranch_vccnz .LBB9_289
; %bb.282:
	s_add_i32 s65, s75, 1
	s_cmp_eq_u32 s72, 2
	s_cbranch_scc1 .LBB9_290
; %bb.283:
	s_and_b32 s64, s65, 28
	v_mov_b32_e32 v0, 0
	s_mov_b32 s66, 0
	s_mov_b64 s[58:59], s[34:35]
	s_mov_b64 s[60:61], s[48:49]
	v_mov_b32_e32 v2, 0
	v_mov_b32_e32 v1, v11
.LBB9_284:                              ; =>This Inner Loop Header: Depth=1
	s_load_dwordx8 s[16:23], s[58:59], 0x4
	s_load_dwordx4 s[0:3], s[58:59], 0x24
	s_load_dwordx8 s[8:15], s[60:61], 0x0
	s_add_u32 s58, s58, 48
	s_addc_u32 s59, s59, 0
	s_waitcnt vmcnt(0) lgkmcnt(0)
	v_mul_hi_u32 v3, s17, v1
	s_add_i32 s66, s66, 4
	s_add_u32 s60, s60, 32
	s_addc_u32 s61, s61, 0
	v_add_u32_e32 v3, v1, v3
	v_lshrrev_b32_e32 v3, s18, v3
	v_mul_lo_u32 v4, v3, s16
	v_mul_hi_u32 v5, s20, v3
	s_cmp_eq_u32 s64, s66
	v_sub_u32_e32 v1, v1, v4
	v_add_u32_e32 v4, v3, v5
	v_mul_lo_u32 v5, v1, s8
	v_mul_lo_u32 v6, v1, s9
	v_lshrrev_b32_e32 v1, s21, v4
	v_mul_lo_u32 v4, v1, s19
	v_mul_hi_u32 v7, s23, v1
	v_sub_u32_e32 v3, v3, v4
	v_add_u32_e32 v4, v1, v7
	v_lshrrev_b32_e32 v4, s0, v4
	v_mul_hi_u32 v8, s2, v4
	v_mul_lo_u32 v9, v4, s22
	v_mul_lo_u32 v7, v3, s10
	;; [unrolled: 1-line block ×3, first 2 shown]
	v_sub_u32_e32 v9, v1, v9
	v_add_u32_e32 v1, v4, v8
	v_lshrrev_b32_e32 v1, s3, v1
	v_mul_lo_u32 v8, v1, s1
	v_mul_lo_u32 v10, v9, s12
	;; [unrolled: 1-line block ×3, first 2 shown]
	v_add3_u32 v2, v5, v2, v7
	v_sub_u32_e32 v4, v4, v8
	v_mul_lo_u32 v8, v4, s14
	v_mul_lo_u32 v4, v4, s15
	v_add3_u32 v0, v6, v0, v3
	v_add3_u32 v2, v10, v2, v8
	;; [unrolled: 1-line block ×3, first 2 shown]
	s_cbranch_scc0 .LBB9_284
	s_branch .LBB9_291
.LBB9_285:
	s_or_b64 exec, exec, s[56:57]
	s_mov_b64 s[2:3], 0
	s_and_saveexec_b64 s[8:9], s[54:55]
	s_cbranch_execnz .LBB9_954
.LBB9_286:
	s_or_b64 exec, exec, s[8:9]
	s_and_saveexec_b64 s[8:9], s[60:61]
	s_xor_b64 s[8:9], exec, s[8:9]
	s_cbranch_execz .LBB9_955
.LBB9_287:
	global_load_ubyte v4, v[0:1], off
	v_mov_b32_e32 v5, 0x3ff00000
	s_waitcnt vmcnt(1)
	v_mov_b32_e32 v3, 0
	s_or_b64 s[0:1], s[0:1], exec
	s_waitcnt vmcnt(0)
	v_cmp_ne_u16_e32 vcc, 0, v4
	v_cndmask_b32_e32 v4, 0, v5, vcc
	s_or_b64 exec, exec, s[8:9]
	s_and_saveexec_b64 s[8:9], s[10:11]
	s_cbranch_execz .LBB9_1001
	s_branch .LBB9_956
.LBB9_288:
                                        ; implicit-def: $vgpr2
                                        ; implicit-def: $vgpr0
	s_andn2_b64 vcc, exec, s[0:1]
	s_cbranch_vccz .LBB9_295
	s_branch .LBB9_297
.LBB9_289:
	v_mov_b32_e32 v2, 0
	v_mov_b32_e32 v0, 0
	s_branch .LBB9_294
.LBB9_290:
	s_mov_b32 s64, 0
	v_mov_b32_e32 v2, 0
	v_mov_b32_e32 v0, 0
	v_mov_b32_e32 v1, v11
.LBB9_291:
	s_and_b32 s8, s65, 3
	s_cmp_eq_u32 s8, 0
	s_cbranch_scc1 .LBB9_294
; %bb.292:
	s_lshl_b32 s0, s64, 3
	s_add_u32 s0, s34, s0
	s_addc_u32 s1, s35, 0
	s_add_u32 s0, s0, 0xc4
	s_addc_u32 s1, s1, 0
	s_mul_i32 s2, s64, 12
	s_add_u32 s2, s34, s2
	s_addc_u32 s3, s35, 0
.LBB9_293:                              ; =>This Inner Loop Header: Depth=1
	s_load_dwordx2 s[10:11], s[2:3], 0x4
	s_load_dword s9, s[2:3], 0xc
	s_load_dwordx2 s[12:13], s[0:1], 0x0
	s_add_u32 s2, s2, 12
	s_addc_u32 s3, s3, 0
	s_waitcnt vmcnt(0) lgkmcnt(0)
	v_mul_hi_u32 v3, s11, v1
	s_add_u32 s0, s0, 8
	s_addc_u32 s1, s1, 0
	s_add_i32 s8, s8, -1
	v_add_u32_e32 v3, v1, v3
	v_lshrrev_b32_e32 v4, s9, v3
	v_mul_lo_u32 v3, v4, s10
	s_cmp_lg_u32 s8, 0
	v_sub_u32_e32 v1, v1, v3
	v_mad_u64_u32 v[2:3], s[10:11], v1, s12, v[2:3]
	v_mad_u64_u32 v[0:1], s[10:11], v1, s13, v[0:1]
	v_mov_b32_e32 v1, v4
	s_cbranch_scc1 .LBB9_293
.LBB9_294:
	s_cbranch_execnz .LBB9_297
.LBB9_295:
	s_waitcnt lgkmcnt(0)
	v_mul_hi_u32 v0, s37, v11
	s_andn2_b64 vcc, exec, s[46:47]
	v_add_u32_e32 v0, v11, v0
	v_lshrrev_b32_e32 v1, s38, v0
	v_mul_lo_u32 v0, v1, s36
	v_sub_u32_e32 v0, v11, v0
	v_mul_lo_u32 v2, v0, s28
	v_mul_lo_u32 v0, v0, s29
	s_cbranch_vccnz .LBB9_297
; %bb.296:
	s_waitcnt vmcnt(0)
	v_mul_hi_u32 v3, s44, v1
	v_add_u32_e32 v3, v1, v3
	v_lshrrev_b32_e32 v3, s45, v3
	v_mul_lo_u32 v3, v3, s39
	v_sub_u32_e32 v1, v1, v3
	v_mad_u64_u32 v[2:3], s[0:1], v1, s30, v[2:3]
	v_mad_u64_u32 v[0:1], s[0:1], v1, s31, v[0:1]
.LBB9_297:
	s_waitcnt lgkmcnt(0)
	v_mov_b32_e32 v1, s27
	s_and_b32 s12, 0xffff, s74
	v_add_co_u32_e32 v0, vcc, s26, v0
	s_cmp_lt_i32 s12, 11
	v_addc_co_u32_e32 v1, vcc, 0, v1, vcc
	s_cbranch_scc1 .LBB9_304
; %bb.298:
	s_cmp_gt_i32 s12, 25
	s_cbranch_scc0 .LBB9_325
; %bb.299:
	s_cmp_gt_i32 s12, 28
	s_cbranch_scc0 .LBB9_327
; %bb.300:
	s_cmp_gt_i32 s12, 43
	s_cbranch_scc0 .LBB9_329
; %bb.301:
	s_cmp_gt_i32 s12, 45
	s_cbranch_scc0 .LBB9_333
; %bb.302:
	s_cmp_eq_u32 s12, 46
	s_mov_b64 s[8:9], 0
	s_cbranch_scc0 .LBB9_337
; %bb.303:
	global_load_dword v3, v[0:1], off
	s_mov_b64 s[0:1], -1
	s_mov_b64 s[2:3], 0
	s_waitcnt vmcnt(0)
	v_lshlrev_b32_e32 v3, 16, v3
	v_cvt_f64_f32_e32 v[3:4], v3
	s_branch .LBB9_338
.LBB9_304:
	s_mov_b64 s[0:1], 0
                                        ; implicit-def: $vgpr3_vgpr4
	s_mov_b64 s[2:3], s[54:55]
	s_cbranch_execnz .LBB9_515
.LBB9_305:
	s_andn2_b64 vcc, exec, s[0:1]
	s_cbranch_vccnz .LBB9_563
.LBB9_306:
	s_mov_b32 s0, 0
	s_mov_b32 s1, 0x40200000
	s_waitcnt vmcnt(0)
	v_cmp_le_f64_e64 s[0:1], |v[3:4]|, s[0:1]
                                        ; implicit-def: $vgpr0_vgpr1
	s_and_saveexec_b64 s[8:9], s[0:1]
	s_xor_b64 s[0:1], exec, s[8:9]
	s_cbranch_execz .LBB9_312
; %bb.307:
	v_fma_f64 v[0:1], |v[3:4]|, 0.5, -2.0
	v_mov_b32_e32 v5, 0xc38a0576
	v_mov_b32_e32 v6, 0xbc7857d0
	s_mov_b32 s9, 0x3c499f2a
	s_mov_b32 s8, 0xc3c4014
	;; [unrolled: 1-line block ×4, first 2 shown]
	v_mov_b32_e32 v14, 0xfca7ab0c
	v_fma_f64 v[5:6], v[0:1], s[8:9], v[5:6]
	s_mov_b32 s9, 0xbc499f2a
	v_mov_b32_e32 v15, 0x3e928af3
	v_cmp_ngt_f64_e32 vcc, 0, v[3:4]
	v_fma_f64 v[7:8], v[0:1], v[5:6], s[8:9]
	s_mov_b32 s8, 0xe593bfac
	s_mov_b32 s9, 0x3ca663e3
	v_add_f64 v[7:8], v[7:8], s[8:9]
	s_mov_b32 s8, 0x7e0d1573
	s_mov_b32 s9, 0xbcd3eaaa
	v_fma_f64 v[5:6], v[0:1], v[7:8], -v[5:6]
	v_add_f64 v[5:6], v[5:6], s[8:9]
	s_mov_b32 s8, 0x615290c
	s_mov_b32 s9, 0x3d011d7f
	v_fma_f64 v[7:8], v[0:1], v[5:6], -v[7:8]
	;; [unrolled: 4-line block ×20, first 2 shown]
	v_add_f64 v[7:8], v[7:8], s[8:9]
	s_mov_b32 s8, 0x652b82fe
	s_mov_b32 s9, 0x3ff71547
	v_mul_f64 v[9:10], |v[3:4]|, s[8:9]
	s_mov_b32 s8, 0x7913a26a
	s_mov_b32 s9, 0xbf85a29f
	v_fma_f64 v[5:6], v[0:1], v[7:8], -v[5:6]
	v_rndne_f64_e32 v[9:10], v[9:10]
	v_add_f64 v[5:6], v[5:6], s[8:9]
	s_mov_b32 s8, 0xfefa39ef
	s_mov_b32 s9, 0xbfe62e42
	v_fma_f64 v[12:13], v[9:10], s[8:9], |v[3:4]|
	s_mov_b32 s8, 0xe7bb2349
	s_mov_b32 s9, 0x3f9951e3
	v_fma_f64 v[7:8], v[0:1], v[5:6], -v[7:8]
	v_fma_f64 v[12:13], v[9:10], s[10:11], v[12:13]
	s_mov_b32 s10, 0x623fde64
	s_mov_b32 s11, 0x3ec71dee
	v_cvt_i32_f64_e32 v9, v[9:10]
	v_add_f64 v[7:8], v[7:8], s[8:9]
	s_mov_b32 s8, 0x6a5dcb37
	s_mov_b32 s9, 0x3e5ade15
	v_fma_f64 v[14:15], v[12:13], s[8:9], v[14:15]
	s_mov_b32 s8, 0x537c9ebc
	s_mov_b32 s9, 0xbfab1bbc
	v_fma_f64 v[5:6], v[0:1], v[7:8], -v[5:6]
	v_fma_f64 v[14:15], v[12:13], v[14:15], s[10:11]
	s_mov_b32 s10, 0x14761f6e
	s_mov_b32 s11, 0x3f2a01a0
	v_add_f64 v[5:6], v[5:6], s[8:9]
	s_mov_b32 s8, 0x7c89e6b0
	s_mov_b32 s9, 0x3efa0199
	v_fma_f64 v[14:15], v[12:13], v[14:15], s[8:9]
	s_mov_b32 s8, 0xd536f53c
	s_mov_b32 s9, 0x3fba46da
	v_fma_f64 v[7:8], v[0:1], v[5:6], -v[7:8]
	v_fma_f64 v[14:15], v[12:13], v[14:15], s[10:11]
	s_mov_b32 s10, 0x11122322
	s_mov_b32 s11, 0x3f811111
	;; [unrolled: 10-line block ×3, first 2 shown]
	v_add_f64 v[5:6], v[5:6], s[8:9]
	s_mov_b32 s8, 0x555502a1
	s_mov_b32 s9, 0x3fa55555
	v_fma_f64 v[0:1], v[0:1], v[5:6], -v[7:8]
	v_fma_f64 v[5:6], v[12:13], v[14:15], s[8:9]
	s_mov_b32 s8, 0x724a7ffa
	s_mov_b32 s9, 0x3fd02a63
	v_add_f64 v[0:1], v[0:1], s[8:9]
	v_fma_f64 v[5:6], v[12:13], v[5:6], s[10:11]
	s_mov_b32 s8, 11
	s_mov_b32 s9, 0x3fe00000
	v_add_f64 v[0:1], v[0:1], -v[7:8]
	v_fma_f64 v[5:6], v[12:13], v[5:6], s[8:9]
	v_mul_f64 v[0:1], v[0:1], 0.5
	v_fma_f64 v[7:8], v[12:13], v[5:6], 1.0
	v_mul_f64 v[5:6], |v[3:4]|, v[0:1]
	v_fma_f64 v[7:8], v[12:13], v[7:8], 1.0
                                        ; implicit-def: $vgpr0_vgpr1
	s_and_saveexec_b64 s[8:9], vcc
	s_xor_b64 s[8:9], exec, s[8:9]
	s_cbranch_execz .LBB9_309
; %bb.308:
	s_mov_b32 s10, 0
	s_mov_b32 s11, 0x40900000
	v_ldexp_f64 v[0:1], v[7:8], v9
	v_cmp_ngt_f64_e64 vcc, |v[3:4]|, s[10:11]
	v_mov_b32_e32 v7, 0x7ff00000
                                        ; implicit-def: $vgpr9
                                        ; implicit-def: $vgpr3_vgpr4
	v_cndmask_b32_e32 v1, v7, v1, vcc
	v_cndmask_b32_e32 v0, 0, v0, vcc
	v_mul_f64 v[0:1], v[0:1], v[5:6]
                                        ; implicit-def: $vgpr7_vgpr8
                                        ; implicit-def: $vgpr5_vgpr6
.LBB9_309:
	s_andn2_saveexec_b64 s[8:9], s[8:9]
	s_cbranch_execz .LBB9_311
; %bb.310:
	s_mov_b32 s10, 0
	s_mov_b32 s11, 0x40900000
	v_ldexp_f64 v[0:1], -v[7:8], v9
	v_cmp_ngt_f64_e64 vcc, |v[3:4]|, s[10:11]
	v_mov_b32_e32 v7, 0xfff00000
	v_cndmask_b32_e32 v1, v7, v1, vcc
	v_cndmask_b32_e32 v0, 0, v0, vcc
	v_mul_f64 v[0:1], v[0:1], v[5:6]
.LBB9_311:
	s_or_b64 exec, exec, s[8:9]
                                        ; implicit-def: $vgpr3_vgpr4
.LBB9_312:
	s_andn2_saveexec_b64 s[8:9], s[0:1]
	s_cbranch_execz .LBB9_318
; %bb.313:
	s_mov_b32 s0, 0
	v_and_b32_e32 v1, 0x7fffffff, v4
	v_mov_b32_e32 v0, v3
	s_mov_b32 s1, 0x40400000
	v_div_scale_f64 v[5:6], s[10:11], v[0:1], v[0:1], s[0:1]
	v_div_scale_f64 v[0:1], vcc, s[0:1], v[0:1], s[0:1]
	v_mov_b32_e32 v14, 0xfca7ab0c
	v_mov_b32_e32 v15, 0x3e928af3
	v_rcp_f64_e32 v[7:8], v[5:6]
	v_fma_f64 v[9:10], -v[5:6], v[7:8], 1.0
	v_fma_f64 v[7:8], v[7:8], v[9:10], v[7:8]
	v_fma_f64 v[9:10], -v[5:6], v[7:8], 1.0
	v_fma_f64 v[7:8], v[7:8], v[9:10], v[7:8]
	v_mul_f64 v[9:10], v[0:1], v[7:8]
	v_fma_f64 v[0:1], -v[5:6], v[9:10], v[0:1]
	v_mov_b32_e32 v5, 0xea87b950
	v_mov_b32_e32 v6, 0x3c545b8a
	v_div_fmas_f64 v[0:1], v[0:1], v[7:8], v[9:10]
	v_cmp_ngt_f64_e32 vcc, 0, v[3:4]
	v_div_fixup_f64 v[0:1], v[0:1], |v[3:4]|, s[0:1]
	s_mov_b32 s1, 0x3c61556d
	s_mov_b32 s0, 0xb352e8e6
	v_add_f64 v[0:1], v[0:1], -2.0
	v_fma_f64 v[5:6], v[0:1], s[0:1], v[5:6]
	s_mov_b32 s1, 0xbc61556d
	v_fma_f64 v[7:8], v[0:1], v[5:6], s[0:1]
	s_mov_b32 s0, 0xb2532277
	s_mov_b32 s1, 0xbc8acea3
	v_add_f64 v[7:8], v[7:8], s[0:1]
	s_mov_b32 s0, 0x9c773320
	s_mov_b32 s1, 0xbc82806c
	v_fma_f64 v[5:6], v[0:1], v[7:8], -v[5:6]
	v_add_f64 v[5:6], v[5:6], s[0:1]
	s_mov_b32 s0, 0xfceb588a
	s_mov_b32 s1, 0x3cb55915
	v_fma_f64 v[7:8], v[0:1], v[5:6], -v[7:8]
	;; [unrolled: 4-line block ×14, first 2 shown]
	v_add_f64 v[7:8], v[7:8], s[0:1]
	s_mov_b32 s0, 0x652b82fe
	s_mov_b32 s1, 0x3ff71547
	v_mul_f64 v[9:10], |v[3:4]|, s[0:1]
	s_mov_b32 s0, 0x5423dd80
	s_mov_b32 s1, 0xbe0334ca
	v_fma_f64 v[5:6], v[0:1], v[7:8], -v[5:6]
	v_rndne_f64_e32 v[9:10], v[9:10]
	v_add_f64 v[5:6], v[5:6], s[0:1]
	s_mov_b32 s0, 0xfefa39ef
	s_mov_b32 s1, 0xbfe62e42
	v_fma_f64 v[12:13], v[9:10], s[0:1], |v[3:4]|
	s_mov_b32 s0, 0x9ad53528
	s_mov_b32 s1, 0xbe30790b
	v_fma_f64 v[7:8], v[0:1], v[5:6], -v[7:8]
	v_add_f64 v[7:8], v[7:8], s[0:1]
	s_mov_b32 s0, 0x3b39803f
	s_mov_b32 s1, 0xbc7abc9e
	v_fma_f64 v[12:13], v[9:10], s[0:1], v[12:13]
	s_mov_b32 s0, 0x6a5dcb37
	s_mov_b32 s1, 0x3e5ade15
	v_cvt_i32_f64_e32 v9, v[9:10]
	v_fma_f64 v[5:6], v[0:1], v[7:8], -v[5:6]
	v_fma_f64 v[14:15], v[12:13], s[0:1], v[14:15]
	s_mov_b32 s0, 0x94bb46c1
	s_mov_b32 s1, 0xbe5c4153
	v_add_f64 v[5:6], v[5:6], s[0:1]
	s_mov_b32 s0, 0x623fde64
	s_mov_b32 s1, 0x3ec71dee
	v_fma_f64 v[14:15], v[12:13], v[14:15], s[0:1]
	s_mov_b32 s0, 0x7c89e6b0
	s_mov_b32 s1, 0x3efa0199
	v_fma_f64 v[7:8], v[0:1], v[5:6], -v[7:8]
	v_fma_f64 v[14:15], v[12:13], v[14:15], s[0:1]
	s_mov_b32 s0, 0x2e9e5443
	s_mov_b32 s1, 0xbe90dbfd
	v_add_f64 v[7:8], v[7:8], s[0:1]
	s_mov_b32 s0, 0x14761f6e
	s_mov_b32 s1, 0x3f2a01a0
	v_fma_f64 v[14:15], v[12:13], v[14:15], s[0:1]
	s_mov_b32 s0, 0x1852b7b0
	s_mov_b32 s1, 0x3f56c16c
	;; [unrolled: 10-line block ×4, first 2 shown]
	v_fma_f64 v[5:6], v[0:1], v[7:8], -v[5:6]
	v_fma_f64 v[14:15], v[12:13], v[14:15], s[0:1]
	s_mov_b32 s0, 0x53fcdb4c
	s_mov_b32 s1, 0xbf83fda0
	v_add_f64 v[5:6], v[5:6], s[0:1]
	s_mov_b32 s0, 0xb55b1514
	s_mov_b32 s1, 0x3fe8ea18
	v_fma_f64 v[14:15], v[12:13], v[14:15], 1.0
	v_fma_f64 v[0:1], v[0:1], v[5:6], -v[7:8]
	v_fma_f64 v[5:6], v[12:13], v[14:15], 1.0
	v_add_f64 v[0:1], v[0:1], s[0:1]
	s_mov_b32 s0, 0
	s_mov_b32 s1, 0x40900000
	v_ldexp_f64 v[5:6], v[5:6], v9
	v_cmp_ngt_f64_e64 s[0:1], |v[3:4]|, s[0:1]
	v_mov_b32_e32 v9, 0x7ff00000
	v_add_f64 v[7:8], v[0:1], -v[7:8]
                                        ; implicit-def: $vgpr0_vgpr1
	v_cndmask_b32_e64 v6, v9, v6, s[0:1]
	v_cndmask_b32_e64 v5, 0, v5, s[0:1]
	s_and_saveexec_b64 s[0:1], vcc
	s_xor_b64 s[0:1], exec, s[0:1]
	s_cbranch_execz .LBB9_315
; %bb.314:
	s_mov_b32 s10, 0
	s_brev_b32 s11, 8
	v_cmp_lt_f64_e64 vcc, |v[3:4]|, s[10:11]
	v_mov_b32_e32 v0, 0x100
	v_mul_f64 v[7:8], v[7:8], 0.5
	v_cndmask_b32_e32 v0, 0, v0, vcc
	v_ldexp_f64 v[0:1], |v[3:4]|, v0
	v_mul_f64 v[5:6], v[5:6], v[7:8]
	v_rsq_f64_e32 v[3:4], v[0:1]
	v_mul_f64 v[9:10], v[0:1], v[3:4]
	v_mul_f64 v[3:4], v[3:4], 0.5
	v_fma_f64 v[12:13], -v[3:4], v[9:10], 0.5
	v_fma_f64 v[9:10], v[9:10], v[12:13], v[9:10]
	v_fma_f64 v[3:4], v[3:4], v[12:13], v[3:4]
	v_fma_f64 v[12:13], -v[9:10], v[9:10], v[0:1]
	v_fma_f64 v[9:10], v[12:13], v[3:4], v[9:10]
	v_fma_f64 v[12:13], -v[9:10], v[9:10], v[0:1]
	v_fma_f64 v[3:4], v[12:13], v[3:4], v[9:10]
	v_mov_b32_e32 v9, 0xffffff80
	v_mov_b32_e32 v10, 0x260
	v_cndmask_b32_e32 v9, 0, v9, vcc
	v_cmp_class_f64_e32 vcc, v[0:1], v10
	v_ldexp_f64 v[3:4], v[3:4], v9
	v_cndmask_b32_e32 v1, v4, v1, vcc
	v_cndmask_b32_e32 v0, v3, v0, vcc
	v_div_scale_f64 v[3:4], s[10:11], v[0:1], v[0:1], v[5:6]
	v_div_scale_f64 v[12:13], vcc, v[5:6], v[0:1], v[5:6]
	v_rcp_f64_e32 v[7:8], v[3:4]
	v_fma_f64 v[9:10], -v[3:4], v[7:8], 1.0
	v_fma_f64 v[7:8], v[7:8], v[9:10], v[7:8]
	v_fma_f64 v[9:10], -v[3:4], v[7:8], 1.0
	v_fma_f64 v[7:8], v[7:8], v[9:10], v[7:8]
	v_mul_f64 v[9:10], v[12:13], v[7:8]
	v_fma_f64 v[3:4], -v[3:4], v[9:10], v[12:13]
	v_div_fmas_f64 v[3:4], v[3:4], v[7:8], v[9:10]
                                        ; implicit-def: $vgpr7_vgpr8
	v_div_fixup_f64 v[0:1], v[3:4], v[0:1], v[5:6]
                                        ; implicit-def: $vgpr3_vgpr4
                                        ; implicit-def: $vgpr5_vgpr6
.LBB9_315:
	s_andn2_saveexec_b64 s[0:1], s[0:1]
	s_cbranch_execz .LBB9_317
; %bb.316:
	s_mov_b32 s10, 0
	s_brev_b32 s11, 8
	v_cmp_lt_f64_e64 vcc, |v[3:4]|, s[10:11]
	v_mov_b32_e32 v0, 0x100
	v_mul_f64 v[7:8], v[7:8], -0.5
	v_cndmask_b32_e32 v0, 0, v0, vcc
	v_ldexp_f64 v[0:1], |v[3:4]|, v0
	v_mul_f64 v[5:6], v[5:6], v[7:8]
	v_rsq_f64_e32 v[3:4], v[0:1]
	v_mul_f64 v[9:10], v[0:1], v[3:4]
	v_mul_f64 v[3:4], v[3:4], 0.5
	v_fma_f64 v[12:13], -v[3:4], v[9:10], 0.5
	v_fma_f64 v[9:10], v[9:10], v[12:13], v[9:10]
	v_fma_f64 v[3:4], v[3:4], v[12:13], v[3:4]
	v_fma_f64 v[12:13], -v[9:10], v[9:10], v[0:1]
	v_fma_f64 v[9:10], v[12:13], v[3:4], v[9:10]
	v_fma_f64 v[12:13], -v[9:10], v[9:10], v[0:1]
	v_fma_f64 v[3:4], v[12:13], v[3:4], v[9:10]
	v_mov_b32_e32 v9, 0xffffff80
	v_mov_b32_e32 v10, 0x260
	v_cndmask_b32_e32 v9, 0, v9, vcc
	v_cmp_class_f64_e32 vcc, v[0:1], v10
	v_ldexp_f64 v[3:4], v[3:4], v9
	v_cndmask_b32_e32 v1, v4, v1, vcc
	v_cndmask_b32_e32 v0, v3, v0, vcc
	v_div_scale_f64 v[3:4], s[10:11], v[0:1], v[0:1], v[5:6]
	v_div_scale_f64 v[12:13], vcc, v[5:6], v[0:1], v[5:6]
	v_rcp_f64_e32 v[7:8], v[3:4]
	v_fma_f64 v[9:10], -v[3:4], v[7:8], 1.0
	v_fma_f64 v[7:8], v[7:8], v[9:10], v[7:8]
	v_fma_f64 v[9:10], -v[3:4], v[7:8], 1.0
	v_fma_f64 v[7:8], v[7:8], v[9:10], v[7:8]
	v_mul_f64 v[9:10], v[12:13], v[7:8]
	v_fma_f64 v[3:4], -v[3:4], v[9:10], v[12:13]
	v_div_fmas_f64 v[3:4], v[3:4], v[7:8], v[9:10]
	v_div_fixup_f64 v[0:1], v[3:4], v[0:1], v[5:6]
.LBB9_317:
	s_or_b64 exec, exec, s[0:1]
.LBB9_318:
	s_or_b64 exec, exec, s[8:9]
	v_mov_b32_e32 v3, s25
	s_and_b32 s14, s73, 0xff
	v_add_co_u32_e32 v4, vcc, s24, v2
	s_cmp_lt_i32 s14, 11
	v_addc_co_u32_e32 v5, vcc, 0, v3, vcc
	s_cbranch_scc1 .LBB9_326
; %bb.319:
	s_and_b32 s15, 0xffff, s14
	s_cmp_gt_i32 s15, 25
	s_cbranch_scc0 .LBB9_328
; %bb.320:
	s_cmp_gt_i32 s15, 28
	s_cbranch_scc0 .LBB9_330
; %bb.321:
	;; [unrolled: 3-line block ×4, first 2 shown]
	s_mov_b64 s[10:11], 0
	s_mov_b64 s[0:1], -1
	s_cmp_eq_u32 s15, 46
	s_mov_b64 s[8:9], 0
	s_cbranch_scc0 .LBB9_342
; %bb.324:
	v_cvt_f32_f64_e32 v2, v[0:1]
	s_movk_i32 s0, 0x7fff
	v_mov_b32_e32 v3, 0x7fc0
	s_mov_b64 s[8:9], -1
	v_bfe_u32 v6, v2, 16, 1
	v_cmp_o_f32_e32 vcc, v2, v2
	v_add3_u32 v2, v2, v6, s0
	v_cndmask_b32_sdwa v2, v3, v2, vcc dst_sel:DWORD dst_unused:UNUSED_PAD src0_sel:DWORD src1_sel:WORD_1
	global_store_dword v[4:5], v2, off
	s_mov_b64 s[0:1], 0
	s_branch .LBB9_342
.LBB9_325:
	s_mov_b64 s[8:9], -1
	s_mov_b64 s[0:1], 0
	s_mov_b64 s[2:3], s[54:55]
                                        ; implicit-def: $vgpr3_vgpr4
	s_branch .LBB9_481
.LBB9_326:
	s_mov_b64 s[10:11], -1
	s_mov_b64 s[8:9], 0
	s_mov_b64 s[0:1], s[52:53]
	s_branch .LBB9_411
.LBB9_327:
	s_mov_b64 s[8:9], -1
	s_mov_b64 s[0:1], 0
	s_mov_b64 s[2:3], s[54:55]
                                        ; implicit-def: $vgpr3_vgpr4
	s_branch .LBB9_460
.LBB9_328:
	s_mov_b64 s[10:11], -1
	s_mov_b64 s[8:9], 0
	s_mov_b64 s[0:1], s[52:53]
	s_branch .LBB9_369
.LBB9_329:
	s_mov_b64 s[8:9], -1
	s_mov_b64 s[0:1], 0
	s_mov_b64 s[2:3], s[54:55]
                                        ; implicit-def: $vgpr3_vgpr4
	s_branch .LBB9_455
.LBB9_330:
	s_mov_b64 s[10:11], -1
	s_mov_b64 s[8:9], 0
	s_mov_b64 s[0:1], s[52:53]
	s_branch .LBB9_352
.LBB9_331:
	s_andn2_saveexec_b64 s[12:13], s[12:13]
	s_cbranch_execz .LBB9_80
.LBB9_332:
	s_mov_b32 s16, 0x46000000
	v_add_f32_e64 v3, |v2|, s16
	v_and_b32_e32 v3, 0xff, v3
	v_cmp_ne_u32_e32 vcc, 0, v3
	s_andn2_b64 s[10:11], s[10:11], exec
	s_and_b64 s[16:17], vcc, exec
	s_or_b64 s[10:11], s[10:11], s[16:17]
	s_or_b64 exec, exec, s[12:13]
	v_mov_b32_e32 v6, 0
	s_and_saveexec_b64 s[12:13], s[10:11]
	s_cbranch_execnz .LBB9_81
	s_branch .LBB9_82
.LBB9_333:
	s_mov_b64 s[8:9], -1
	s_mov_b64 s[0:1], 0
	s_mov_b64 s[2:3], s[54:55]
                                        ; implicit-def: $vgpr3_vgpr4
	s_branch .LBB9_338
.LBB9_334:
	s_mov_b64 s[10:11], -1
	s_mov_b64 s[8:9], 0
	s_mov_b64 s[0:1], s[52:53]
	s_branch .LBB9_348
.LBB9_335:
	s_andn2_saveexec_b64 s[12:13], s[12:13]
	s_cbranch_execz .LBB9_93
.LBB9_336:
	s_mov_b32 s16, 0x42800000
	v_add_f32_e64 v3, |v2|, s16
	v_and_b32_e32 v3, 0xff, v3
	v_cmp_ne_u32_e32 vcc, 0, v3
	s_andn2_b64 s[10:11], s[10:11], exec
	s_and_b64 s[16:17], vcc, exec
	s_or_b64 s[10:11], s[10:11], s[16:17]
	s_or_b64 exec, exec, s[12:13]
	v_mov_b32_e32 v6, 0
	s_and_saveexec_b64 s[12:13], s[10:11]
	s_cbranch_execnz .LBB9_94
	s_branch .LBB9_95
.LBB9_337:
	s_mov_b64 s[2:3], -1
                                        ; implicit-def: $vgpr3_vgpr4
	s_mov_b64 s[0:1], 0
.LBB9_338:
	s_and_b64 vcc, exec, s[8:9]
	s_cbranch_vccz .LBB9_454
; %bb.339:
	s_cmp_eq_u32 s12, 44
	s_cbranch_scc0 .LBB9_453
; %bb.340:
	global_load_ubyte v5, v[0:1], off
	s_movk_i32 s2, 0xff
	v_bfrev_b32_e32 v6, 4
	v_mov_b32_e32 v7, 0x7ff80000
	v_bfrev_b32_e32 v8, 28
	s_mov_b64 s[0:1], -1
	s_waitcnt vmcnt(0)
	v_lshlrev_b32_e32 v3, 23, v5
	v_cvt_f64_f32_e32 v[3:4], v3
	v_cmp_ne_u32_e32 vcc, s2, v5
	s_mov_b64 s[2:3], 0
	v_cndmask_b32_e32 v3, v6, v3, vcc
	v_cndmask_b32_e32 v4, v7, v4, vcc
	v_cmp_ne_u32_e32 vcc, 0, v5
	v_cndmask_b32_e32 v4, v8, v4, vcc
	v_cndmask_b32_e32 v3, 0, v3, vcc
	s_branch .LBB9_454
.LBB9_341:
	s_mov_b64 s[10:11], -1
	s_mov_b64 s[8:9], 0
	s_mov_b64 s[0:1], s[52:53]
.LBB9_342:
	s_and_b64 vcc, exec, s[10:11]
	s_cbranch_vccz .LBB9_347
; %bb.343:
	s_cmp_eq_u32 s15, 44
	s_mov_b64 s[0:1], -1
	s_cbranch_scc0 .LBB9_347
; %bb.344:
	v_cvt_f32_f64_e32 v2, v[0:1]
	s_movk_i32 s0, 0xff
	v_mov_b32_e32 v6, 0xff
	v_bfe_u32 v3, v2, 23, 8
	v_cmp_ne_u32_e32 vcc, s0, v3
	s_and_saveexec_b64 s[8:9], vcc
; %bb.345:
	s_mov_b32 s0, 0x3fffff
	v_lshrrev_b32_e32 v6, 23, v2
	v_and_b32_e32 v7, 0x400000, v2
	v_and_or_b32 v2, v2, s0, v3
	v_cmp_ne_u32_e32 vcc, 0, v7
	v_cmp_ne_u32_e64 s[0:1], 0, v2
	s_and_b64 s[0:1], vcc, s[0:1]
	v_cndmask_b32_e64 v2, 0, 1, s[0:1]
	v_add_u32_e32 v6, v6, v2
; %bb.346:
	s_or_b64 exec, exec, s[8:9]
	s_mov_b64 s[8:9], -1
	s_mov_b64 s[0:1], 0
	global_store_byte v[4:5], v6, off
.LBB9_347:
	s_mov_b64 s[10:11], 0
.LBB9_348:
	s_and_b64 vcc, exec, s[10:11]
	s_cbranch_vccz .LBB9_351
; %bb.349:
	s_cmp_eq_u32 s15, 29
	s_mov_b64 s[0:1], -1
	s_cbranch_scc0 .LBB9_351
; %bb.350:
	v_trunc_f64_e32 v[2:3], v[0:1]
	s_movk_i32 s0, 0xffe0
	s_mov_b64 s[8:9], -1
	s_mov_b64 s[10:11], 0
	v_ldexp_f64 v[6:7], v[2:3], s0
	s_mov_b32 s0, 0
	s_mov_b32 s1, 0xc1f00000
	v_floor_f64_e32 v[6:7], v[6:7]
	v_fma_f64 v[2:3], v[6:7], s[0:1], v[2:3]
	v_cvt_u32_f64_e32 v7, v[6:7]
	s_mov_b64 s[0:1], 0
	v_cvt_u32_f64_e32 v6, v[2:3]
	global_store_dwordx2 v[4:5], v[6:7], off
	s_branch .LBB9_352
.LBB9_351:
	s_mov_b64 s[10:11], 0
.LBB9_352:
	s_and_b64 vcc, exec, s[10:11]
	s_cbranch_vccz .LBB9_368
; %bb.353:
	s_cmp_lt_i32 s15, 27
	s_mov_b64 s[8:9], -1
	s_cbranch_scc1 .LBB9_359
; %bb.354:
	v_cvt_u32_f64_e32 v2, v[0:1]
	s_cmp_gt_i32 s15, 27
	s_cbranch_scc0 .LBB9_356
; %bb.355:
	s_mov_b64 s[8:9], 0
	global_store_dword v[4:5], v2, off
.LBB9_356:
	s_andn2_b64 vcc, exec, s[8:9]
	s_cbranch_vccnz .LBB9_358
; %bb.357:
	global_store_short v[4:5], v2, off
.LBB9_358:
	s_mov_b64 s[8:9], 0
.LBB9_359:
	s_andn2_b64 vcc, exec, s[8:9]
	s_cbranch_vccnz .LBB9_367
; %bb.360:
	v_cvt_f32_f64_e32 v2, v[0:1]
	s_mov_b32 s8, 0x43800000
	v_mov_b32_e32 v6, 0x80
	v_and_b32_e32 v3, 0x7fffffff, v2
	v_cmp_gt_u32_e32 vcc, s8, v3
	s_and_saveexec_b64 s[8:9], vcc
	s_cbranch_execz .LBB9_366
; %bb.361:
	s_mov_b32 s10, 0x3bffffff
	v_cmp_lt_u32_e32 vcc, s10, v3
	s_mov_b64 s[10:11], 0
                                        ; implicit-def: $vgpr3
	s_and_saveexec_b64 s[12:13], vcc
	s_xor_b64 s[12:13], exec, s[12:13]
	s_cbranch_execz .LBB9_594
; %bb.362:
	v_bfe_u32 v3, v2, 20, 1
	s_mov_b32 s16, 0x487ffff
	v_add3_u32 v3, v2, v3, s16
	s_mov_b64 s[10:11], exec
	v_lshrrev_b32_e32 v3, 20, v3
	s_andn2_saveexec_b64 s[12:13], s[12:13]
	s_cbranch_execnz .LBB9_595
.LBB9_363:
	s_or_b64 exec, exec, s[12:13]
	v_mov_b32_e32 v6, 0
	s_and_saveexec_b64 s[12:13], s[10:11]
.LBB9_364:
	v_lshrrev_b32_e32 v2, 24, v2
	s_movk_i32 s10, 0x80
	v_and_or_b32 v6, v2, s10, v3
.LBB9_365:
	s_or_b64 exec, exec, s[12:13]
.LBB9_366:
	s_or_b64 exec, exec, s[8:9]
	global_store_byte v[4:5], v6, off
.LBB9_367:
	s_mov_b64 s[8:9], -1
.LBB9_368:
	s_mov_b64 s[10:11], 0
.LBB9_369:
	s_and_b64 vcc, exec, s[10:11]
	s_cbranch_vccz .LBB9_410
; %bb.370:
	s_cmp_gt_i32 s15, 22
	s_mov_b64 s[10:11], -1
	s_cbranch_scc0 .LBB9_402
; %bb.371:
	s_cmp_lt_i32 s15, 24
	s_mov_b64 s[8:9], -1
	s_cbranch_scc1 .LBB9_391
; %bb.372:
	s_cmp_gt_i32 s15, 24
	s_cbranch_scc0 .LBB9_380
; %bb.373:
	v_cvt_f32_f64_e32 v2, v[0:1]
	s_mov_b32 s8, 0x47800000
	v_mov_b32_e32 v6, 0x80
	v_and_b32_e32 v3, 0x7fffffff, v2
	v_cmp_gt_u32_e32 vcc, s8, v3
	s_and_saveexec_b64 s[8:9], vcc
	s_cbranch_execz .LBB9_379
; %bb.374:
	s_mov_b32 s10, 0x37ffffff
	v_cmp_lt_u32_e32 vcc, s10, v3
	s_mov_b64 s[10:11], 0
                                        ; implicit-def: $vgpr3
	s_and_saveexec_b64 s[12:13], vcc
	s_xor_b64 s[12:13], exec, s[12:13]
	s_cbranch_execz .LBB9_597
; %bb.375:
	v_bfe_u32 v3, v2, 21, 1
	s_mov_b32 s16, 0x88fffff
	v_add3_u32 v3, v2, v3, s16
	s_mov_b64 s[10:11], exec
	v_lshrrev_b32_e32 v3, 21, v3
	s_andn2_saveexec_b64 s[12:13], s[12:13]
	s_cbranch_execnz .LBB9_598
.LBB9_376:
	s_or_b64 exec, exec, s[12:13]
	v_mov_b32_e32 v6, 0
	s_and_saveexec_b64 s[12:13], s[10:11]
.LBB9_377:
	v_lshrrev_b32_e32 v2, 24, v2
	s_movk_i32 s10, 0x80
	v_and_or_b32 v6, v2, s10, v3
.LBB9_378:
	s_or_b64 exec, exec, s[12:13]
.LBB9_379:
	s_or_b64 exec, exec, s[8:9]
	s_mov_b64 s[8:9], 0
	global_store_byte v[4:5], v6, off
.LBB9_380:
	s_and_b64 vcc, exec, s[8:9]
	s_cbranch_vccz .LBB9_390
; %bb.381:
	v_cvt_f32_f64_e32 v2, v[0:1]
	s_mov_b32 s8, 0x43f00000
                                        ; implicit-def: $vgpr3
	v_and_b32_e32 v6, 0x7fffffff, v2
	v_cmp_gt_u32_e32 vcc, s8, v6
	s_and_saveexec_b64 s[8:9], vcc
	s_xor_b64 s[8:9], exec, s[8:9]
	s_cbranch_execz .LBB9_387
; %bb.382:
	s_mov_b32 s10, 0x3c7fffff
	v_cmp_lt_u32_e32 vcc, s10, v6
                                        ; implicit-def: $vgpr3
	s_and_saveexec_b64 s[10:11], vcc
	s_xor_b64 s[10:11], exec, s[10:11]
; %bb.383:
	v_bfe_u32 v3, v2, 20, 1
	s_mov_b32 s12, 0x407ffff
	v_add3_u32 v3, v2, v3, s12
	v_lshrrev_b32_e32 v6, 20, v3
	v_and_b32_e32 v3, 0xff00000, v3
	s_mov_b32 s12, 0x7f00000
	v_mov_b32_e32 v7, 0x7e
	v_cmp_ne_u32_e32 vcc, s12, v3
	v_cndmask_b32_e32 v3, v7, v6, vcc
; %bb.384:
	s_andn2_saveexec_b64 s[10:11], s[10:11]
; %bb.385:
	s_mov_b32 s12, 0x46800000
	v_add_f32_e64 v3, |v2|, s12
; %bb.386:
	s_or_b64 exec, exec, s[10:11]
                                        ; implicit-def: $vgpr6
.LBB9_387:
	s_andn2_saveexec_b64 s[8:9], s[8:9]
; %bb.388:
	s_mov_b32 s10, 0x7f800000
	v_mov_b32_e32 v3, 0x7e
	v_mov_b32_e32 v7, 0x7f
	v_cmp_lt_u32_e32 vcc, s10, v6
	v_cndmask_b32_e32 v3, v3, v7, vcc
; %bb.389:
	s_or_b64 exec, exec, s[8:9]
	v_lshrrev_b32_e32 v2, 24, v2
	s_movk_i32 s8, 0x80
	v_and_or_b32 v2, v2, s8, v3
	global_store_byte v[4:5], v2, off
.LBB9_390:
	s_mov_b64 s[8:9], 0
.LBB9_391:
	s_andn2_b64 vcc, exec, s[8:9]
	s_cbranch_vccnz .LBB9_401
; %bb.392:
	v_cvt_f32_f64_e32 v2, v[0:1]
	s_mov_b32 s8, 0x47800000
                                        ; implicit-def: $vgpr3
	v_and_b32_e32 v6, 0x7fffffff, v2
	v_cmp_gt_u32_e32 vcc, s8, v6
	s_and_saveexec_b64 s[8:9], vcc
	s_xor_b64 s[8:9], exec, s[8:9]
	s_cbranch_execz .LBB9_398
; %bb.393:
	s_mov_b32 s10, 0x387fffff
	v_cmp_lt_u32_e32 vcc, s10, v6
                                        ; implicit-def: $vgpr3
	s_and_saveexec_b64 s[10:11], vcc
	s_xor_b64 s[10:11], exec, s[10:11]
; %bb.394:
	v_bfe_u32 v3, v2, 21, 1
	s_mov_b32 s12, 0x80fffff
	v_add3_u32 v3, v2, v3, s12
	v_lshrrev_b32_e32 v3, 21, v3
; %bb.395:
	s_andn2_saveexec_b64 s[10:11], s[10:11]
; %bb.396:
	s_mov_b32 s12, 0x43000000
	v_add_f32_e64 v3, |v2|, s12
; %bb.397:
	s_or_b64 exec, exec, s[10:11]
                                        ; implicit-def: $vgpr6
.LBB9_398:
	s_andn2_saveexec_b64 s[8:9], s[8:9]
; %bb.399:
	s_mov_b32 s10, 0x7f800000
	v_mov_b32_e32 v3, 0x7c
	v_mov_b32_e32 v7, 0x7f
	v_cmp_lt_u32_e32 vcc, s10, v6
	v_cndmask_b32_e32 v3, v3, v7, vcc
; %bb.400:
	s_or_b64 exec, exec, s[8:9]
	v_lshrrev_b32_e32 v2, 24, v2
	s_movk_i32 s8, 0x80
	v_and_or_b32 v2, v2, s8, v3
	global_store_byte v[4:5], v2, off
.LBB9_401:
	s_mov_b64 s[10:11], 0
	s_mov_b64 s[8:9], -1
.LBB9_402:
	s_andn2_b64 vcc, exec, s[10:11]
	s_cbranch_vccnz .LBB9_410
; %bb.403:
	s_cmp_gt_i32 s15, 14
	s_mov_b64 s[10:11], -1
	s_cbranch_scc0 .LBB9_407
; %bb.404:
	s_cmp_eq_u32 s15, 15
	s_mov_b64 s[0:1], -1
	s_cbranch_scc0 .LBB9_406
; %bb.405:
	v_cvt_f32_f64_e32 v2, v[0:1]
	s_movk_i32 s0, 0x7fff
	v_mov_b32_e32 v3, 0x7fc0
	s_mov_b64 s[8:9], -1
	v_bfe_u32 v6, v2, 16, 1
	v_cmp_o_f32_e32 vcc, v2, v2
	v_add3_u32 v2, v2, v6, s0
	v_cndmask_b32_sdwa v2, v3, v2, vcc dst_sel:DWORD dst_unused:UNUSED_PAD src0_sel:DWORD src1_sel:WORD_1
	global_store_short v[4:5], v2, off
	s_mov_b64 s[0:1], 0
.LBB9_406:
	s_mov_b64 s[10:11], 0
.LBB9_407:
	s_and_b64 vcc, exec, s[10:11]
	s_cbranch_vccz .LBB9_410
; %bb.408:
	s_cmp_eq_u32 s15, 11
	s_mov_b64 s[0:1], -1
	s_cbranch_scc0 .LBB9_410
; %bb.409:
	v_cmp_neq_f64_e32 vcc, 0, v[0:1]
	s_mov_b64 s[0:1], 0
	s_mov_b64 s[8:9], -1
	v_cndmask_b32_e64 v2, 0, 1, vcc
	global_store_byte v[4:5], v2, off
.LBB9_410:
	s_mov_b64 s[10:11], 0
.LBB9_411:
	s_and_b64 vcc, exec, s[10:11]
	s_cbranch_vccz .LBB9_450
; %bb.412:
	s_and_b32 s10, 0xffff, s14
	s_cmp_lt_i32 s10, 5
	s_mov_b64 s[8:9], -1
	s_cbranch_scc1 .LBB9_433
; %bb.413:
	s_cmp_lt_i32 s10, 8
	s_cbranch_scc1 .LBB9_423
; %bb.414:
	s_cmp_lt_i32 s10, 9
	s_cbranch_scc1 .LBB9_420
; %bb.415:
	s_cmp_gt_i32 s10, 9
	s_cbranch_scc0 .LBB9_417
; %bb.416:
	v_mov_b32_e32 v2, 0
	v_mov_b32_e32 v3, v2
	s_mov_b64 s[8:9], 0
	global_store_dwordx4 v[4:5], v[0:3], off
.LBB9_417:
	s_andn2_b64 vcc, exec, s[8:9]
	s_cbranch_vccnz .LBB9_419
; %bb.418:
	v_cvt_f32_f64_e32 v2, v[0:1]
	v_mov_b32_e32 v3, 0
	global_store_dwordx2 v[4:5], v[2:3], off
.LBB9_419:
	s_mov_b64 s[8:9], 0
.LBB9_420:
	s_andn2_b64 vcc, exec, s[8:9]
	s_cbranch_vccnz .LBB9_422
; %bb.421:
	s_movk_i32 s8, 0x1ff
	v_and_or_b32 v2, v1, s8, v0
	v_cmp_ne_u32_e32 vcc, 0, v2
	v_cndmask_b32_e64 v2, 0, 1, vcc
	v_lshrrev_b32_e32 v3, 8, v1
	s_movk_i32 s8, 0xffe
	v_bfe_u32 v6, v1, 20, 11
	v_and_or_b32 v2, v3, s8, v2
	v_sub_u32_e32 v7, 0x3f1, v6
	v_or_b32_e32 v3, 0x1000, v2
	v_med3_i32 v7, v7, 0, 13
	v_lshrrev_b32_e32 v8, v7, v3
	v_lshlrev_b32_e32 v7, v7, v8
	v_cmp_ne_u32_e32 vcc, v7, v3
	v_cndmask_b32_e64 v3, 0, 1, vcc
	v_add_u32_e32 v6, 0xfffffc10, v6
	v_or_b32_e32 v3, v8, v3
	v_lshl_or_b32 v7, v6, 12, v2
	v_cmp_gt_i32_e32 vcc, 1, v6
	v_cndmask_b32_e32 v3, v7, v3, vcc
	v_and_b32_e32 v7, 7, v3
	v_cmp_lt_i32_e32 vcc, 5, v7
	v_cndmask_b32_e64 v8, 0, 1, vcc
	v_cmp_eq_u32_e32 vcc, 3, v7
	v_cndmask_b32_e64 v7, 0, 1, vcc
	v_or_b32_e32 v7, v7, v8
	v_lshrrev_b32_e32 v3, 2, v3
	v_add_u32_e32 v3, v3, v7
	v_mov_b32_e32 v7, 0x7c00
	v_cmp_gt_i32_e32 vcc, 31, v6
	v_cndmask_b32_e32 v3, v7, v3, vcc
	v_mov_b32_e32 v8, 0x7e00
	v_cmp_ne_u32_e32 vcc, 0, v2
	s_movk_i32 s8, 0x40f
	v_cndmask_b32_e32 v2, v7, v8, vcc
	v_cmp_eq_u32_e32 vcc, s8, v6
	v_cndmask_b32_e32 v2, v3, v2, vcc
	v_lshrrev_b32_e32 v3, 16, v1
	s_mov_b32 s8, 0x8000
	v_and_or_b32 v2, v3, s8, v2
	v_and_b32_e32 v2, 0xffff, v2
	global_store_dword v[4:5], v2, off
.LBB9_422:
	s_mov_b64 s[8:9], 0
.LBB9_423:
	s_andn2_b64 vcc, exec, s[8:9]
	s_cbranch_vccnz .LBB9_432
; %bb.424:
	s_cmp_lt_i32 s10, 6
	s_mov_b64 s[8:9], -1
	s_cbranch_scc1 .LBB9_430
; %bb.425:
	s_cmp_gt_i32 s10, 6
	s_cbranch_scc0 .LBB9_427
; %bb.426:
	s_mov_b64 s[8:9], 0
	global_store_dwordx2 v[4:5], v[0:1], off
.LBB9_427:
	s_andn2_b64 vcc, exec, s[8:9]
	s_cbranch_vccnz .LBB9_429
; %bb.428:
	v_cvt_f32_f64_e32 v2, v[0:1]
	global_store_dword v[4:5], v2, off
.LBB9_429:
	s_mov_b64 s[8:9], 0
.LBB9_430:
	s_andn2_b64 vcc, exec, s[8:9]
	s_cbranch_vccnz .LBB9_432
; %bb.431:
	s_movk_i32 s8, 0x1ff
	v_and_or_b32 v2, v1, s8, v0
	v_cmp_ne_u32_e32 vcc, 0, v2
	v_cndmask_b32_e64 v2, 0, 1, vcc
	v_lshrrev_b32_e32 v3, 8, v1
	s_movk_i32 s8, 0xffe
	v_bfe_u32 v6, v1, 20, 11
	v_and_or_b32 v2, v3, s8, v2
	v_sub_u32_e32 v7, 0x3f1, v6
	v_or_b32_e32 v3, 0x1000, v2
	v_med3_i32 v7, v7, 0, 13
	v_lshrrev_b32_e32 v8, v7, v3
	v_lshlrev_b32_e32 v7, v7, v8
	v_cmp_ne_u32_e32 vcc, v7, v3
	v_cndmask_b32_e64 v3, 0, 1, vcc
	v_add_u32_e32 v6, 0xfffffc10, v6
	v_or_b32_e32 v3, v8, v3
	v_lshl_or_b32 v7, v6, 12, v2
	v_cmp_gt_i32_e32 vcc, 1, v6
	v_cndmask_b32_e32 v3, v7, v3, vcc
	v_and_b32_e32 v7, 7, v3
	v_cmp_lt_i32_e32 vcc, 5, v7
	v_cndmask_b32_e64 v8, 0, 1, vcc
	v_cmp_eq_u32_e32 vcc, 3, v7
	v_cndmask_b32_e64 v7, 0, 1, vcc
	v_or_b32_e32 v7, v7, v8
	v_lshrrev_b32_e32 v3, 2, v3
	v_add_u32_e32 v3, v3, v7
	v_mov_b32_e32 v7, 0x7c00
	v_cmp_gt_i32_e32 vcc, 31, v6
	v_cndmask_b32_e32 v3, v7, v3, vcc
	v_mov_b32_e32 v8, 0x7e00
	v_cmp_ne_u32_e32 vcc, 0, v2
	s_movk_i32 s8, 0x40f
	v_cndmask_b32_e32 v2, v7, v8, vcc
	v_cmp_eq_u32_e32 vcc, s8, v6
	v_cndmask_b32_e32 v2, v3, v2, vcc
	v_lshrrev_b32_e32 v3, 16, v1
	s_mov_b32 s8, 0x8000
	v_and_or_b32 v2, v3, s8, v2
	global_store_short v[4:5], v2, off
.LBB9_432:
	s_mov_b64 s[8:9], 0
.LBB9_433:
	s_andn2_b64 vcc, exec, s[8:9]
	s_cbranch_vccnz .LBB9_449
; %bb.434:
	s_cmp_lt_i32 s10, 2
	s_mov_b64 s[8:9], -1
	s_cbranch_scc1 .LBB9_444
; %bb.435:
	s_cmp_lt_i32 s10, 3
	s_cbranch_scc1 .LBB9_441
; %bb.436:
	s_cmp_gt_i32 s10, 3
	s_cbranch_scc0 .LBB9_438
; %bb.437:
	v_trunc_f64_e32 v[2:3], v[0:1]
	s_movk_i32 s8, 0xffe0
	v_ldexp_f64 v[6:7], v[2:3], s8
	s_mov_b32 s8, 0
	s_mov_b32 s9, 0xc1f00000
	v_floor_f64_e32 v[6:7], v[6:7]
	v_fma_f64 v[2:3], v[6:7], s[8:9], v[2:3]
	v_cvt_i32_f64_e32 v7, v[6:7]
	s_mov_b64 s[8:9], 0
	v_cvt_u32_f64_e32 v6, v[2:3]
	global_store_dwordx2 v[4:5], v[6:7], off
.LBB9_438:
	s_andn2_b64 vcc, exec, s[8:9]
	s_cbranch_vccnz .LBB9_440
; %bb.439:
	v_cvt_i32_f64_e32 v2, v[0:1]
	global_store_dword v[4:5], v2, off
.LBB9_440:
	s_mov_b64 s[8:9], 0
.LBB9_441:
	s_andn2_b64 vcc, exec, s[8:9]
	s_cbranch_vccnz .LBB9_443
; %bb.442:
	v_cvt_i32_f64_e32 v2, v[0:1]
	global_store_short v[4:5], v2, off
.LBB9_443:
	s_mov_b64 s[8:9], 0
.LBB9_444:
	s_andn2_b64 vcc, exec, s[8:9]
	s_cbranch_vccnz .LBB9_449
; %bb.445:
	s_cmp_gt_i32 s10, 0
	s_mov_b64 s[8:9], -1
	s_cbranch_scc0 .LBB9_447
; %bb.446:
	v_cvt_i32_f64_e32 v2, v[0:1]
	s_mov_b64 s[8:9], 0
	global_store_byte v[4:5], v2, off
.LBB9_447:
	s_andn2_b64 vcc, exec, s[8:9]
	s_cbranch_vccnz .LBB9_449
; %bb.448:
	v_trunc_f64_e32 v[0:1], v[0:1]
	s_movk_i32 s8, 0xffe0
	v_ldexp_f64 v[2:3], v[0:1], s8
	s_mov_b32 s8, 0
	s_mov_b32 s9, 0xc1f00000
	v_floor_f64_e32 v[2:3], v[2:3]
	v_fma_f64 v[0:1], v[2:3], s[8:9], v[0:1]
	v_cvt_u32_f64_e32 v0, v[0:1]
	global_store_byte v[4:5], v0, off
.LBB9_449:
	s_mov_b64 s[8:9], -1
.LBB9_450:
	s_andn2_b64 vcc, exec, s[8:9]
	s_cbranch_vccnz .LBB9_452
; %bb.451:
	v_add_u32_e32 v11, 0x80, v11
	s_mov_b64 s[8:9], -1
	s_branch .LBB9_565
.LBB9_452:
	s_mov_b64 s[8:9], 0
	s_branch .LBB9_564
.LBB9_453:
	s_mov_b64 s[2:3], -1
                                        ; implicit-def: $vgpr3_vgpr4
.LBB9_454:
	s_mov_b64 s[8:9], 0
.LBB9_455:
	s_and_b64 vcc, exec, s[8:9]
	s_cbranch_vccz .LBB9_459
; %bb.456:
	s_cmp_eq_u32 s12, 29
	s_cbranch_scc0 .LBB9_458
; %bb.457:
	global_load_dwordx2 v[3:4], v[0:1], off
	s_mov_b64 s[0:1], -1
	s_mov_b64 s[2:3], 0
	s_mov_b64 s[8:9], 0
	s_waitcnt vmcnt(0)
	v_cvt_f64_u32_e32 v[4:5], v4
	v_cvt_f64_u32_e32 v[6:7], v3
	v_ldexp_f64 v[4:5], v[4:5], 32
	v_add_f64 v[3:4], v[4:5], v[6:7]
	s_branch .LBB9_460
.LBB9_458:
	s_mov_b64 s[2:3], -1
                                        ; implicit-def: $vgpr3_vgpr4
.LBB9_459:
	s_mov_b64 s[8:9], 0
.LBB9_460:
	s_and_b64 vcc, exec, s[8:9]
	s_cbranch_vccz .LBB9_480
; %bb.461:
	s_cmp_lt_i32 s12, 27
	s_cbranch_scc1 .LBB9_464
; %bb.462:
	s_cmp_gt_i32 s12, 27
	s_cbranch_scc0 .LBB9_465
; %bb.463:
	global_load_dword v3, v[0:1], off
	s_mov_b64 s[0:1], 0
	s_waitcnt vmcnt(0)
	v_cvt_f64_u32_e32 v[3:4], v3
	s_branch .LBB9_466
.LBB9_464:
	s_mov_b64 s[0:1], -1
                                        ; implicit-def: $vgpr3_vgpr4
	s_branch .LBB9_469
.LBB9_465:
	s_mov_b64 s[0:1], -1
                                        ; implicit-def: $vgpr3_vgpr4
.LBB9_466:
	s_andn2_b64 vcc, exec, s[0:1]
	s_cbranch_vccnz .LBB9_468
; %bb.467:
	global_load_ushort v3, v[0:1], off
	s_waitcnt vmcnt(0)
	v_cvt_f64_u32_e32 v[3:4], v3
.LBB9_468:
	s_mov_b64 s[0:1], 0
.LBB9_469:
	s_andn2_b64 vcc, exec, s[0:1]
	s_cbranch_vccnz .LBB9_479
; %bb.470:
	global_load_ubyte v5, v[0:1], off
	s_movk_i32 s0, 0x7f
	s_waitcnt vmcnt(0)
	v_cmp_lt_i16_e32 vcc, s0, v5
	s_mov_b64 s[0:1], 0
	s_and_saveexec_b64 s[8:9], vcc
	s_xor_b64 s[8:9], exec, s[8:9]
	s_cbranch_execz .LBB9_474
; %bb.471:
	s_movk_i32 s0, 0x80
	v_cmp_eq_u16_e32 vcc, s0, v5
	s_mov_b64 s[0:1], -1
	s_and_saveexec_b64 s[10:11], vcc
; %bb.472:
	s_xor_b64 s[0:1], exec, -1
; %bb.473:
	s_or_b64 exec, exec, s[10:11]
	s_and_b64 s[0:1], s[0:1], exec
.LBB9_474:
	s_or_saveexec_b64 s[8:9], s[8:9]
	v_bfrev_b32_e32 v3, 4
	v_mov_b32_e32 v4, 0x7ff80000
	s_xor_b64 exec, exec, s[8:9]
; %bb.475:
	v_cmp_ne_u16_e32 vcc, 0, v5
	v_mov_b32_e32 v3, 0
	s_andn2_b64 s[0:1], s[0:1], exec
	s_and_b64 s[10:11], vcc, exec
	v_mov_b32_e32 v4, 0
	s_or_b64 s[0:1], s[0:1], s[10:11]
; %bb.476:
	s_or_b64 exec, exec, s[8:9]
	s_and_saveexec_b64 s[8:9], s[0:1]
	s_cbranch_execz .LBB9_478
; %bb.477:
	v_and_b32_e32 v4, 0xffff, v5
	v_lshlrev_b32_e32 v3, 24, v5
	v_and_b32_e32 v5, 7, v4
	v_ffbh_u32_e32 v7, v5
	v_min_u32_e32 v7, 32, v7
	v_subrev_u32_e32 v8, 28, v7
	v_bfe_u32 v6, v4, 3, 4
	v_lshlrev_b32_e32 v4, v8, v4
	v_sub_u32_e32 v7, 29, v7
	v_and_b32_e32 v4, 7, v4
	v_cmp_eq_u32_e32 vcc, 0, v6
	v_cndmask_b32_e32 v6, v6, v7, vcc
	v_cndmask_b32_e32 v4, v5, v4, vcc
	v_mov_b32_e32 v5, 0x3b800000
	v_lshlrev_b32_e32 v4, 20, v4
	v_and_b32_e32 v3, 0x80000000, v3
	v_lshl_add_u32 v5, v6, 23, v5
	v_or3_b32 v3, v3, v5, v4
	v_cvt_f64_f32_e32 v[3:4], v3
.LBB9_478:
	s_or_b64 exec, exec, s[8:9]
.LBB9_479:
	s_mov_b64 s[0:1], -1
.LBB9_480:
	s_mov_b64 s[8:9], 0
.LBB9_481:
	s_and_b64 vcc, exec, s[8:9]
	s_cbranch_vccz .LBB9_514
; %bb.482:
	s_cmp_gt_i32 s12, 22
	s_cbranch_scc0 .LBB9_494
; %bb.483:
	s_cmp_lt_i32 s12, 24
	s_cbranch_scc1 .LBB9_495
; %bb.484:
	s_cmp_gt_i32 s12, 24
	s_cbranch_scc0 .LBB9_496
; %bb.485:
	global_load_ubyte v5, v[0:1], off
	s_movk_i32 s0, 0x7f
	s_waitcnt vmcnt(0)
	v_cmp_lt_i16_e32 vcc, s0, v5
	s_mov_b64 s[0:1], 0
	s_and_saveexec_b64 s[8:9], vcc
	s_xor_b64 s[8:9], exec, s[8:9]
	s_cbranch_execz .LBB9_489
; %bb.486:
	s_movk_i32 s0, 0x80
	v_cmp_eq_u16_e32 vcc, s0, v5
	s_mov_b64 s[0:1], -1
	s_and_saveexec_b64 s[10:11], vcc
; %bb.487:
	s_xor_b64 s[0:1], exec, -1
; %bb.488:
	s_or_b64 exec, exec, s[10:11]
	s_and_b64 s[0:1], s[0:1], exec
.LBB9_489:
	s_or_saveexec_b64 s[8:9], s[8:9]
	v_bfrev_b32_e32 v3, 4
	v_mov_b32_e32 v4, 0x7ff80000
	s_xor_b64 exec, exec, s[8:9]
; %bb.490:
	v_cmp_ne_u16_e32 vcc, 0, v5
	v_mov_b32_e32 v3, 0
	s_andn2_b64 s[0:1], s[0:1], exec
	s_and_b64 s[10:11], vcc, exec
	v_mov_b32_e32 v4, 0
	s_or_b64 s[0:1], s[0:1], s[10:11]
; %bb.491:
	s_or_b64 exec, exec, s[8:9]
	s_and_saveexec_b64 s[8:9], s[0:1]
	s_cbranch_execz .LBB9_493
; %bb.492:
	v_and_b32_e32 v4, 0xffff, v5
	v_lshlrev_b32_e32 v3, 24, v5
	v_and_b32_e32 v5, 3, v4
	v_ffbh_u32_e32 v7, v5
	v_min_u32_e32 v7, 32, v7
	v_subrev_u32_e32 v8, 29, v7
	v_bfe_u32 v6, v4, 2, 5
	v_lshlrev_b32_e32 v4, v8, v4
	v_sub_u32_e32 v7, 30, v7
	v_and_b32_e32 v4, 3, v4
	v_cmp_eq_u32_e32 vcc, 0, v6
	v_cndmask_b32_e32 v6, v6, v7, vcc
	v_cndmask_b32_e32 v4, v5, v4, vcc
	v_mov_b32_e32 v5, 0x37800000
	v_lshlrev_b32_e32 v4, 21, v4
	v_and_b32_e32 v3, 0x80000000, v3
	v_lshl_add_u32 v5, v6, 23, v5
	v_or3_b32 v3, v3, v5, v4
	v_cvt_f64_f32_e32 v[3:4], v3
.LBB9_493:
	s_or_b64 exec, exec, s[8:9]
	s_mov_b64 s[0:1], 0
	s_branch .LBB9_497
.LBB9_494:
	s_mov_b64 s[8:9], -1
                                        ; implicit-def: $vgpr3_vgpr4
	s_branch .LBB9_503
.LBB9_495:
	s_mov_b64 s[0:1], -1
                                        ; implicit-def: $vgpr3_vgpr4
	s_branch .LBB9_500
.LBB9_496:
	s_mov_b64 s[0:1], -1
                                        ; implicit-def: $vgpr3_vgpr4
.LBB9_497:
	s_and_b64 vcc, exec, s[0:1]
	s_cbranch_vccz .LBB9_499
; %bb.498:
	global_load_ubyte v3, v[0:1], off
	s_mov_b32 s0, 0x7f800000
	s_waitcnt vmcnt(0)
	v_lshlrev_b32_e32 v3, 24, v3
	v_and_b32_e32 v4, 0x7f000000, v3
	v_ffbh_u32_e32 v5, v4
	v_min_u32_e32 v5, 32, v5
	v_sub_u32_e64 v5, v5, 4 clamp
	v_lshlrev_b32_e32 v7, v5, v4
	v_lshlrev_b32_e32 v5, 23, v5
	v_lshrrev_b32_e32 v7, 4, v7
	v_add_u32_e32 v6, 0x1000000, v4
	v_sub_u32_e32 v5, v7, v5
	v_ashrrev_i32_e32 v6, 8, v6
	v_add_u32_e32 v5, 0x3c000000, v5
	v_and_or_b32 v5, v6, s0, v5
	v_cmp_ne_u32_e32 vcc, 0, v4
	v_cndmask_b32_e32 v4, 0, v5, vcc
	s_brev_b32 s0, 1
	v_and_or_b32 v3, v3, s0, v4
	v_cvt_f64_f32_e32 v[3:4], v3
.LBB9_499:
	s_mov_b64 s[0:1], 0
.LBB9_500:
	s_andn2_b64 vcc, exec, s[0:1]
	s_cbranch_vccnz .LBB9_502
; %bb.501:
	global_load_ubyte v3, v[0:1], off
	s_movk_i32 s0, 0x7f00
	s_brev_b32 s1, 16
	s_waitcnt vmcnt(0)
	v_lshlrev_b16_e32 v4, 8, v3
	v_lshlrev_b32_e32 v3, 25, v3
	v_lshrrev_b32_e32 v5, 4, v3
	v_and_or_b32 v6, v4, s0, 0.5
	v_or_b32_e32 v5, 0x70000000, v5
	v_add_f32_e32 v6, -0.5, v6
	v_mul_f32_e32 v5, 0x7800000, v5
	v_cmp_gt_u32_e32 vcc, s1, v3
	v_bfe_i32 v4, v4, 0, 16
	v_cndmask_b32_e32 v3, v5, v6, vcc
	s_brev_b32 s0, 1
	v_and_or_b32 v3, v4, s0, v3
	v_cvt_f64_f32_e32 v[3:4], v3
.LBB9_502:
	s_mov_b64 s[8:9], 0
	s_mov_b64 s[0:1], -1
.LBB9_503:
	s_andn2_b64 vcc, exec, s[8:9]
	s_cbranch_vccnz .LBB9_514
; %bb.504:
	s_cmp_gt_i32 s12, 14
	s_cbranch_scc0 .LBB9_507
; %bb.505:
	s_cmp_eq_u32 s12, 15
	s_cbranch_scc0 .LBB9_508
; %bb.506:
	global_load_ushort v3, v[0:1], off
	s_mov_b64 s[0:1], -1
	s_mov_b64 s[2:3], 0
	s_waitcnt vmcnt(0)
	v_lshlrev_b32_e32 v3, 16, v3
	v_cvt_f64_f32_e32 v[3:4], v3
	s_branch .LBB9_509
.LBB9_507:
	s_mov_b64 s[8:9], -1
                                        ; implicit-def: $vgpr3_vgpr4
	s_branch .LBB9_510
.LBB9_508:
	s_mov_b64 s[2:3], -1
                                        ; implicit-def: $vgpr3_vgpr4
.LBB9_509:
	s_mov_b64 s[8:9], 0
.LBB9_510:
	s_and_b64 vcc, exec, s[8:9]
	s_cbranch_vccz .LBB9_514
; %bb.511:
	s_cmp_eq_u32 s12, 11
	s_cbranch_scc0 .LBB9_513
; %bb.512:
	global_load_ubyte v4, v[0:1], off
	v_mov_b32_e32 v5, 0x3ff00000
	s_waitcnt vmcnt(1)
	v_mov_b32_e32 v3, 0
	s_mov_b64 s[0:1], -1
	s_mov_b64 s[2:3], 0
	s_waitcnt vmcnt(0)
	v_cmp_ne_u16_e32 vcc, 0, v4
	v_cndmask_b32_e32 v4, 0, v5, vcc
	s_branch .LBB9_514
.LBB9_513:
	s_mov_b64 s[2:3], -1
                                        ; implicit-def: $vgpr3_vgpr4
.LBB9_514:
	s_branch .LBB9_305
.LBB9_515:
	s_cmp_lt_i32 s12, 5
	s_cbranch_scc1 .LBB9_520
; %bb.516:
	s_cmp_lt_i32 s12, 8
	s_cbranch_scc1 .LBB9_521
; %bb.517:
	s_cmp_lt_i32 s12, 9
	s_cbranch_scc1 .LBB9_522
; %bb.518:
	s_cmp_gt_i32 s12, 9
	s_cbranch_scc0 .LBB9_523
; %bb.519:
	global_load_dwordx2 v[3:4], v[0:1], off
	s_mov_b64 s[0:1], 0
	s_branch .LBB9_524
.LBB9_520:
	s_mov_b64 s[0:1], -1
                                        ; implicit-def: $vgpr3_vgpr4
	s_branch .LBB9_542
.LBB9_521:
	s_mov_b64 s[0:1], -1
                                        ; implicit-def: $vgpr3_vgpr4
	s_branch .LBB9_530
.LBB9_522:
	s_mov_b64 s[0:1], -1
                                        ; implicit-def: $vgpr3_vgpr4
	s_branch .LBB9_527
.LBB9_523:
	s_mov_b64 s[0:1], -1
                                        ; implicit-def: $vgpr3_vgpr4
.LBB9_524:
	s_andn2_b64 vcc, exec, s[0:1]
	s_cbranch_vccnz .LBB9_526
; %bb.525:
	global_load_dword v3, v[0:1], off
	s_waitcnt vmcnt(0)
	v_cvt_f64_f32_e32 v[3:4], v3
.LBB9_526:
	s_mov_b64 s[0:1], 0
.LBB9_527:
	s_andn2_b64 vcc, exec, s[0:1]
	s_cbranch_vccnz .LBB9_529
; %bb.528:
	global_load_dword v3, v[0:1], off
	s_waitcnt vmcnt(0)
	v_cvt_f32_f16_e32 v3, v3
	v_cvt_f64_f32_e32 v[3:4], v3
.LBB9_529:
	s_mov_b64 s[0:1], 0
.LBB9_530:
	s_andn2_b64 vcc, exec, s[0:1]
	s_cbranch_vccnz .LBB9_541
; %bb.531:
	s_cmp_lt_i32 s12, 6
	s_cbranch_scc1 .LBB9_534
; %bb.532:
	s_cmp_gt_i32 s12, 6
	s_cbranch_scc0 .LBB9_535
; %bb.533:
	global_load_dwordx2 v[3:4], v[0:1], off
	s_mov_b64 s[0:1], 0
	s_branch .LBB9_536
.LBB9_534:
	s_mov_b64 s[0:1], -1
                                        ; implicit-def: $vgpr3_vgpr4
	s_branch .LBB9_539
.LBB9_535:
	s_mov_b64 s[0:1], -1
                                        ; implicit-def: $vgpr3_vgpr4
.LBB9_536:
	s_andn2_b64 vcc, exec, s[0:1]
	s_cbranch_vccnz .LBB9_538
; %bb.537:
	global_load_dword v3, v[0:1], off
	s_waitcnt vmcnt(0)
	v_cvt_f64_f32_e32 v[3:4], v3
.LBB9_538:
	s_mov_b64 s[0:1], 0
.LBB9_539:
	s_andn2_b64 vcc, exec, s[0:1]
	s_cbranch_vccnz .LBB9_541
; %bb.540:
	global_load_ushort v3, v[0:1], off
	s_waitcnt vmcnt(0)
	v_cvt_f32_f16_e32 v3, v3
	v_cvt_f64_f32_e32 v[3:4], v3
.LBB9_541:
	s_mov_b64 s[0:1], 0
.LBB9_542:
	s_andn2_b64 vcc, exec, s[0:1]
	s_cbranch_vccnz .LBB9_562
; %bb.543:
	s_cmp_lt_i32 s12, 2
	s_cbranch_scc1 .LBB9_547
; %bb.544:
	s_cmp_lt_i32 s12, 3
	s_cbranch_scc1 .LBB9_548
; %bb.545:
	s_cmp_gt_i32 s12, 3
	s_cbranch_scc0 .LBB9_549
; %bb.546:
	global_load_dwordx2 v[3:4], v[0:1], off
	s_mov_b64 s[0:1], 0
	s_waitcnt vmcnt(0)
	v_cvt_f64_i32_e32 v[4:5], v4
	v_cvt_f64_u32_e32 v[6:7], v3
	v_ldexp_f64 v[4:5], v[4:5], 32
	v_add_f64 v[3:4], v[4:5], v[6:7]
	s_branch .LBB9_550
.LBB9_547:
	s_mov_b64 s[0:1], -1
                                        ; implicit-def: $vgpr3_vgpr4
	s_branch .LBB9_556
.LBB9_548:
	s_mov_b64 s[0:1], -1
                                        ; implicit-def: $vgpr3_vgpr4
	s_branch .LBB9_553
.LBB9_549:
	s_mov_b64 s[0:1], -1
                                        ; implicit-def: $vgpr3_vgpr4
.LBB9_550:
	s_andn2_b64 vcc, exec, s[0:1]
	s_cbranch_vccnz .LBB9_552
; %bb.551:
	global_load_dword v3, v[0:1], off
	s_waitcnt vmcnt(0)
	v_cvt_f64_i32_e32 v[3:4], v3
.LBB9_552:
	s_mov_b64 s[0:1], 0
.LBB9_553:
	s_andn2_b64 vcc, exec, s[0:1]
	s_cbranch_vccnz .LBB9_555
; %bb.554:
	global_load_sshort v3, v[0:1], off
	s_waitcnt vmcnt(0)
	v_cvt_f64_i32_e32 v[3:4], v3
.LBB9_555:
	s_mov_b64 s[0:1], 0
.LBB9_556:
	s_andn2_b64 vcc, exec, s[0:1]
	s_cbranch_vccnz .LBB9_562
; %bb.557:
	s_cmp_gt_i32 s12, 0
	s_cbranch_scc0 .LBB9_559
; %bb.558:
	global_load_sbyte v3, v[0:1], off
	s_mov_b64 s[0:1], 0
	s_waitcnt vmcnt(0)
	v_cvt_f64_i32_e32 v[3:4], v3
	s_branch .LBB9_560
.LBB9_559:
	s_mov_b64 s[0:1], -1
                                        ; implicit-def: $vgpr3_vgpr4
.LBB9_560:
	s_andn2_b64 vcc, exec, s[0:1]
	s_cbranch_vccnz .LBB9_562
; %bb.561:
	global_load_ubyte v0, v[0:1], off
	s_waitcnt vmcnt(0)
	v_cvt_f64_u32_e32 v[3:4], v0
.LBB9_562:
	s_branch .LBB9_306
.LBB9_563:
	s_mov_b64 s[8:9], 0
	s_mov_b64 s[0:1], s[52:53]
.LBB9_564:
                                        ; implicit-def: $vgpr11
.LBB9_565:
	s_andn2_b64 s[10:11], s[52:53], exec
	s_and_b64 s[0:1], s[0:1], exec
	s_or_b64 s[60:61], s[10:11], s[0:1]
	s_andn2_b64 s[0:1], s[54:55], exec
	s_and_b64 s[2:3], s[2:3], exec
	s_or_b64 s[58:59], s[0:1], s[2:3]
	s_orn2_b64 s[0:1], s[8:9], exec
.LBB9_566:
	s_or_b64 exec, exec, s[62:63]
	s_mov_b64 s[2:3], 0
	s_mov_b64 s[8:9], 0
	s_mov_b64 s[10:11], 0
                                        ; implicit-def: $vgpr0_vgpr1
                                        ; implicit-def: $vgpr2
                                        ; implicit-def: $vgpr3_vgpr4
	s_and_saveexec_b64 s[62:63], s[0:1]
	s_cbranch_execz .LBB9_953
; %bb.567:
	v_cmp_gt_i32_e32 vcc, s70, v11
	s_mov_b64 s[2:3], -1
	s_mov_b64 s[66:67], s[58:59]
	s_mov_b64 s[68:69], s[60:61]
	s_and_saveexec_b64 s[64:65], vcc
	s_cbranch_execz .LBB9_853
; %bb.568:
	s_andn2_b64 vcc, exec, s[40:41]
	s_cbranch_vccnz .LBB9_573
; %bb.569:
	s_andn2_b64 vcc, exec, s[50:51]
	s_cbranch_vccnz .LBB9_574
; %bb.570:
	s_add_i32 s76, s75, 1
	s_cmp_eq_u32 s72, 2
	s_cbranch_scc1 .LBB9_575
; %bb.571:
	s_and_b32 s71, s76, 28
	v_mov_b32_e32 v0, 0
	s_mov_b32 s77, 0
	s_mov_b64 s[66:67], s[34:35]
	s_mov_b64 s[68:69], s[48:49]
	v_mov_b32_e32 v2, 0
	v_mov_b32_e32 v1, v11
.LBB9_572:                              ; =>This Inner Loop Header: Depth=1
	s_load_dwordx8 s[16:23], s[66:67], 0x4
	s_load_dwordx4 s[0:3], s[66:67], 0x24
	s_load_dwordx8 s[8:15], s[68:69], 0x0
	s_add_u32 s66, s66, 48
	s_addc_u32 s67, s67, 0
	s_waitcnt vmcnt(0) lgkmcnt(0)
	v_mul_hi_u32 v3, s17, v1
	s_add_i32 s77, s77, 4
	s_add_u32 s68, s68, 32
	s_addc_u32 s69, s69, 0
	v_add_u32_e32 v3, v1, v3
	v_lshrrev_b32_e32 v3, s18, v3
	v_mul_lo_u32 v4, v3, s16
	v_mul_hi_u32 v5, s20, v3
	s_cmp_eq_u32 s71, s77
	v_sub_u32_e32 v1, v1, v4
	v_add_u32_e32 v4, v3, v5
	v_mul_lo_u32 v5, v1, s8
	v_mul_lo_u32 v6, v1, s9
	v_lshrrev_b32_e32 v1, s21, v4
	v_mul_lo_u32 v4, v1, s19
	v_mul_hi_u32 v7, s23, v1
	v_sub_u32_e32 v3, v3, v4
	v_add_u32_e32 v4, v1, v7
	v_lshrrev_b32_e32 v4, s0, v4
	v_mul_hi_u32 v8, s2, v4
	v_mul_lo_u32 v9, v4, s22
	v_mul_lo_u32 v7, v3, s10
	;; [unrolled: 1-line block ×3, first 2 shown]
	v_sub_u32_e32 v9, v1, v9
	v_add_u32_e32 v1, v4, v8
	v_lshrrev_b32_e32 v1, s3, v1
	v_mul_lo_u32 v8, v1, s1
	v_mul_lo_u32 v10, v9, s12
	;; [unrolled: 1-line block ×3, first 2 shown]
	v_add3_u32 v2, v5, v2, v7
	v_sub_u32_e32 v4, v4, v8
	v_mul_lo_u32 v8, v4, s14
	v_mul_lo_u32 v4, v4, s15
	v_add3_u32 v0, v6, v0, v3
	v_add3_u32 v2, v10, v2, v8
	;; [unrolled: 1-line block ×3, first 2 shown]
	s_cbranch_scc0 .LBB9_572
	s_branch .LBB9_576
.LBB9_573:
	s_mov_b64 s[0:1], -1
                                        ; implicit-def: $vgpr2
                                        ; implicit-def: $vgpr0
	s_branch .LBB9_580
.LBB9_574:
	v_mov_b32_e32 v2, 0
	v_mov_b32_e32 v0, 0
	s_branch .LBB9_579
.LBB9_575:
	s_mov_b32 s71, 0
	v_mov_b32_e32 v2, 0
	v_mov_b32_e32 v0, 0
	;; [unrolled: 1-line block ×3, first 2 shown]
.LBB9_576:
	s_and_b32 s8, s76, 3
	s_cmp_eq_u32 s8, 0
	s_cbranch_scc1 .LBB9_579
; %bb.577:
	s_lshl_b32 s0, s71, 3
	s_add_u32 s0, s34, s0
	s_addc_u32 s1, s35, 0
	s_add_u32 s0, s0, 0xc4
	s_addc_u32 s1, s1, 0
	s_mul_i32 s2, s71, 12
	s_add_u32 s2, s34, s2
	s_addc_u32 s3, s35, 0
.LBB9_578:                              ; =>This Inner Loop Header: Depth=1
	s_load_dwordx2 s[10:11], s[2:3], 0x4
	s_load_dword s9, s[2:3], 0xc
	s_load_dwordx2 s[12:13], s[0:1], 0x0
	s_add_u32 s2, s2, 12
	s_addc_u32 s3, s3, 0
	s_waitcnt vmcnt(0) lgkmcnt(0)
	v_mul_hi_u32 v3, s11, v1
	s_add_u32 s0, s0, 8
	s_addc_u32 s1, s1, 0
	s_add_i32 s8, s8, -1
	v_add_u32_e32 v3, v1, v3
	v_lshrrev_b32_e32 v4, s9, v3
	v_mul_lo_u32 v3, v4, s10
	s_cmp_lg_u32 s8, 0
	v_sub_u32_e32 v1, v1, v3
	v_mad_u64_u32 v[2:3], s[10:11], v1, s12, v[2:3]
	v_mad_u64_u32 v[0:1], s[10:11], v1, s13, v[0:1]
	v_mov_b32_e32 v1, v4
	s_cbranch_scc1 .LBB9_578
.LBB9_579:
	s_mov_b64 s[0:1], 0
.LBB9_580:
	s_andn2_b64 vcc, exec, s[0:1]
	s_cbranch_vccnz .LBB9_583
; %bb.581:
	s_waitcnt lgkmcnt(0)
	v_mul_hi_u32 v0, s37, v11
	s_andn2_b64 vcc, exec, s[46:47]
	v_add_u32_e32 v0, v11, v0
	v_lshrrev_b32_e32 v1, s38, v0
	v_mul_lo_u32 v0, v1, s36
	v_sub_u32_e32 v0, v11, v0
	v_mul_lo_u32 v2, v0, s28
	v_mul_lo_u32 v0, v0, s29
	s_cbranch_vccnz .LBB9_583
; %bb.582:
	s_waitcnt vmcnt(0)
	v_mul_hi_u32 v3, s44, v1
	v_add_u32_e32 v3, v1, v3
	v_lshrrev_b32_e32 v3, s45, v3
	v_mul_lo_u32 v3, v3, s39
	v_sub_u32_e32 v1, v1, v3
	v_mad_u64_u32 v[2:3], s[0:1], v1, s30, v[2:3]
	v_mad_u64_u32 v[0:1], s[0:1], v1, s31, v[0:1]
.LBB9_583:
	s_waitcnt lgkmcnt(0)
	v_mov_b32_e32 v1, s27
	s_and_b32 s12, 0xffff, s74
	v_add_co_u32_e32 v0, vcc, s26, v0
	s_cmp_lt_i32 s12, 11
	v_addc_co_u32_e32 v1, vcc, 0, v1, vcc
	s_cbranch_scc1 .LBB9_590
; %bb.584:
	s_cmp_gt_i32 s12, 25
	s_cbranch_scc0 .LBB9_591
; %bb.585:
	s_cmp_gt_i32 s12, 28
	s_cbranch_scc0 .LBB9_592
; %bb.586:
	s_cmp_gt_i32 s12, 43
	s_cbranch_scc0 .LBB9_593
; %bb.587:
	s_cmp_gt_i32 s12, 45
	s_cbranch_scc0 .LBB9_596
; %bb.588:
	s_cmp_eq_u32 s12, 46
	s_mov_b64 s[8:9], 0
	s_cbranch_scc0 .LBB9_599
; %bb.589:
	global_load_dword v3, v[0:1], off
	s_mov_b64 s[0:1], -1
	s_mov_b64 s[2:3], 0
	s_waitcnt vmcnt(0)
	v_lshlrev_b32_e32 v3, 16, v3
	v_cvt_f64_f32_e32 v[3:4], v3
	s_branch .LBB9_600
.LBB9_590:
	s_mov_b64 s[8:9], -1
	s_mov_b64 s[0:1], 0
                                        ; implicit-def: $vgpr3_vgpr4
	s_mov_b64 s[2:3], s[58:59]
	s_branch .LBB9_665
.LBB9_591:
	s_mov_b64 s[8:9], -1
	s_mov_b64 s[0:1], 0
	s_mov_b64 s[2:3], s[58:59]
                                        ; implicit-def: $vgpr3_vgpr4
	s_branch .LBB9_631
.LBB9_592:
	s_mov_b64 s[8:9], -1
	s_mov_b64 s[0:1], 0
	s_mov_b64 s[2:3], s[58:59]
                                        ; implicit-def: $vgpr3_vgpr4
	s_branch .LBB9_610
.LBB9_593:
	s_mov_b64 s[8:9], -1
	s_mov_b64 s[0:1], 0
	s_mov_b64 s[2:3], s[58:59]
                                        ; implicit-def: $vgpr3_vgpr4
	s_branch .LBB9_605
.LBB9_594:
	s_andn2_saveexec_b64 s[12:13], s[12:13]
	s_cbranch_execz .LBB9_363
.LBB9_595:
	s_mov_b32 s16, 0x46000000
	v_add_f32_e64 v3, |v2|, s16
	v_and_b32_e32 v3, 0xff, v3
	v_cmp_ne_u32_e32 vcc, 0, v3
	s_andn2_b64 s[10:11], s[10:11], exec
	s_and_b64 s[16:17], vcc, exec
	s_or_b64 s[10:11], s[10:11], s[16:17]
	s_or_b64 exec, exec, s[12:13]
	v_mov_b32_e32 v6, 0
	s_and_saveexec_b64 s[12:13], s[10:11]
	s_cbranch_execnz .LBB9_364
	s_branch .LBB9_365
.LBB9_596:
	s_mov_b64 s[8:9], -1
	s_mov_b64 s[0:1], 0
	s_mov_b64 s[2:3], s[58:59]
                                        ; implicit-def: $vgpr3_vgpr4
	s_branch .LBB9_600
.LBB9_597:
	s_andn2_saveexec_b64 s[12:13], s[12:13]
	s_cbranch_execz .LBB9_376
.LBB9_598:
	s_mov_b32 s16, 0x42800000
	v_add_f32_e64 v3, |v2|, s16
	v_and_b32_e32 v3, 0xff, v3
	v_cmp_ne_u32_e32 vcc, 0, v3
	s_andn2_b64 s[10:11], s[10:11], exec
	s_and_b64 s[16:17], vcc, exec
	s_or_b64 s[10:11], s[10:11], s[16:17]
	s_or_b64 exec, exec, s[12:13]
	v_mov_b32_e32 v6, 0
	s_and_saveexec_b64 s[12:13], s[10:11]
	s_cbranch_execnz .LBB9_377
	s_branch .LBB9_378
.LBB9_599:
	s_mov_b64 s[2:3], -1
                                        ; implicit-def: $vgpr3_vgpr4
	s_mov_b64 s[0:1], 0
.LBB9_600:
	s_and_b64 vcc, exec, s[8:9]
	s_cbranch_vccz .LBB9_604
; %bb.601:
	s_cmp_eq_u32 s12, 44
	s_cbranch_scc0 .LBB9_603
; %bb.602:
	global_load_ubyte v5, v[0:1], off
	s_movk_i32 s2, 0xff
	v_bfrev_b32_e32 v6, 4
	v_mov_b32_e32 v7, 0x7ff80000
	v_bfrev_b32_e32 v8, 28
	s_mov_b64 s[0:1], -1
	s_waitcnt vmcnt(0)
	v_lshlrev_b32_e32 v3, 23, v5
	v_cvt_f64_f32_e32 v[3:4], v3
	v_cmp_ne_u32_e32 vcc, s2, v5
	s_mov_b64 s[2:3], 0
	v_cndmask_b32_e32 v3, v6, v3, vcc
	v_cndmask_b32_e32 v4, v7, v4, vcc
	v_cmp_ne_u32_e32 vcc, 0, v5
	v_cndmask_b32_e32 v4, v8, v4, vcc
	v_cndmask_b32_e32 v3, 0, v3, vcc
	s_branch .LBB9_604
.LBB9_603:
	s_mov_b64 s[2:3], -1
                                        ; implicit-def: $vgpr3_vgpr4
.LBB9_604:
	s_mov_b64 s[8:9], 0
.LBB9_605:
	s_and_b64 vcc, exec, s[8:9]
	s_cbranch_vccz .LBB9_609
; %bb.606:
	s_cmp_eq_u32 s12, 29
	s_cbranch_scc0 .LBB9_608
; %bb.607:
	global_load_dwordx2 v[3:4], v[0:1], off
	s_mov_b64 s[0:1], -1
	s_mov_b64 s[2:3], 0
	s_mov_b64 s[8:9], 0
	s_waitcnt vmcnt(0)
	v_cvt_f64_u32_e32 v[4:5], v4
	v_cvt_f64_u32_e32 v[6:7], v3
	v_ldexp_f64 v[4:5], v[4:5], 32
	v_add_f64 v[3:4], v[4:5], v[6:7]
	s_branch .LBB9_610
.LBB9_608:
	s_mov_b64 s[2:3], -1
                                        ; implicit-def: $vgpr3_vgpr4
.LBB9_609:
	s_mov_b64 s[8:9], 0
.LBB9_610:
	s_and_b64 vcc, exec, s[8:9]
	s_cbranch_vccz .LBB9_630
; %bb.611:
	s_cmp_lt_i32 s12, 27
	s_cbranch_scc1 .LBB9_614
; %bb.612:
	s_cmp_gt_i32 s12, 27
	s_cbranch_scc0 .LBB9_615
; %bb.613:
	global_load_dword v3, v[0:1], off
	s_mov_b64 s[0:1], 0
	s_waitcnt vmcnt(0)
	v_cvt_f64_u32_e32 v[3:4], v3
	s_branch .LBB9_616
.LBB9_614:
	s_mov_b64 s[0:1], -1
                                        ; implicit-def: $vgpr3_vgpr4
	s_branch .LBB9_619
.LBB9_615:
	s_mov_b64 s[0:1], -1
                                        ; implicit-def: $vgpr3_vgpr4
.LBB9_616:
	s_andn2_b64 vcc, exec, s[0:1]
	s_cbranch_vccnz .LBB9_618
; %bb.617:
	global_load_ushort v3, v[0:1], off
	s_waitcnt vmcnt(0)
	v_cvt_f64_u32_e32 v[3:4], v3
.LBB9_618:
	s_mov_b64 s[0:1], 0
.LBB9_619:
	s_andn2_b64 vcc, exec, s[0:1]
	s_cbranch_vccnz .LBB9_629
; %bb.620:
	global_load_ubyte v5, v[0:1], off
	s_movk_i32 s0, 0x7f
	s_waitcnt vmcnt(0)
	v_cmp_lt_i16_e32 vcc, s0, v5
	s_mov_b64 s[0:1], 0
	s_and_saveexec_b64 s[8:9], vcc
	s_xor_b64 s[8:9], exec, s[8:9]
	s_cbranch_execz .LBB9_624
; %bb.621:
	s_movk_i32 s0, 0x80
	v_cmp_eq_u16_e32 vcc, s0, v5
	s_mov_b64 s[0:1], -1
	s_and_saveexec_b64 s[10:11], vcc
; %bb.622:
	s_xor_b64 s[0:1], exec, -1
; %bb.623:
	s_or_b64 exec, exec, s[10:11]
	s_and_b64 s[0:1], s[0:1], exec
.LBB9_624:
	s_or_saveexec_b64 s[8:9], s[8:9]
	v_bfrev_b32_e32 v3, 4
	v_mov_b32_e32 v4, 0x7ff80000
	s_xor_b64 exec, exec, s[8:9]
; %bb.625:
	v_cmp_ne_u16_e32 vcc, 0, v5
	v_mov_b32_e32 v3, 0
	s_andn2_b64 s[0:1], s[0:1], exec
	s_and_b64 s[10:11], vcc, exec
	v_mov_b32_e32 v4, 0
	s_or_b64 s[0:1], s[0:1], s[10:11]
; %bb.626:
	s_or_b64 exec, exec, s[8:9]
	s_and_saveexec_b64 s[8:9], s[0:1]
	s_cbranch_execz .LBB9_628
; %bb.627:
	v_and_b32_e32 v4, 0xffff, v5
	v_lshlrev_b32_e32 v3, 24, v5
	v_and_b32_e32 v5, 7, v4
	v_ffbh_u32_e32 v7, v5
	v_min_u32_e32 v7, 32, v7
	v_subrev_u32_e32 v8, 28, v7
	v_bfe_u32 v6, v4, 3, 4
	v_lshlrev_b32_e32 v4, v8, v4
	v_sub_u32_e32 v7, 29, v7
	v_and_b32_e32 v4, 7, v4
	v_cmp_eq_u32_e32 vcc, 0, v6
	v_cndmask_b32_e32 v6, v6, v7, vcc
	v_cndmask_b32_e32 v4, v5, v4, vcc
	v_mov_b32_e32 v5, 0x3b800000
	v_lshlrev_b32_e32 v4, 20, v4
	v_and_b32_e32 v3, 0x80000000, v3
	v_lshl_add_u32 v5, v6, 23, v5
	v_or3_b32 v3, v3, v5, v4
	v_cvt_f64_f32_e32 v[3:4], v3
.LBB9_628:
	s_or_b64 exec, exec, s[8:9]
.LBB9_629:
	s_mov_b64 s[0:1], -1
.LBB9_630:
	s_mov_b64 s[8:9], 0
.LBB9_631:
	s_and_b64 vcc, exec, s[8:9]
	s_cbranch_vccz .LBB9_664
; %bb.632:
	s_cmp_gt_i32 s12, 22
	s_cbranch_scc0 .LBB9_644
; %bb.633:
	s_cmp_lt_i32 s12, 24
	s_cbranch_scc1 .LBB9_645
; %bb.634:
	s_cmp_gt_i32 s12, 24
	s_cbranch_scc0 .LBB9_646
; %bb.635:
	global_load_ubyte v5, v[0:1], off
	s_movk_i32 s0, 0x7f
	s_waitcnt vmcnt(0)
	v_cmp_lt_i16_e32 vcc, s0, v5
	s_mov_b64 s[0:1], 0
	s_and_saveexec_b64 s[8:9], vcc
	s_xor_b64 s[8:9], exec, s[8:9]
	s_cbranch_execz .LBB9_639
; %bb.636:
	s_movk_i32 s0, 0x80
	v_cmp_eq_u16_e32 vcc, s0, v5
	s_mov_b64 s[0:1], -1
	s_and_saveexec_b64 s[10:11], vcc
; %bb.637:
	s_xor_b64 s[0:1], exec, -1
; %bb.638:
	s_or_b64 exec, exec, s[10:11]
	s_and_b64 s[0:1], s[0:1], exec
.LBB9_639:
	s_or_saveexec_b64 s[8:9], s[8:9]
	v_bfrev_b32_e32 v3, 4
	v_mov_b32_e32 v4, 0x7ff80000
	s_xor_b64 exec, exec, s[8:9]
; %bb.640:
	v_cmp_ne_u16_e32 vcc, 0, v5
	v_mov_b32_e32 v3, 0
	s_andn2_b64 s[0:1], s[0:1], exec
	s_and_b64 s[10:11], vcc, exec
	v_mov_b32_e32 v4, 0
	s_or_b64 s[0:1], s[0:1], s[10:11]
; %bb.641:
	s_or_b64 exec, exec, s[8:9]
	s_and_saveexec_b64 s[8:9], s[0:1]
	s_cbranch_execz .LBB9_643
; %bb.642:
	v_and_b32_e32 v4, 0xffff, v5
	v_lshlrev_b32_e32 v3, 24, v5
	v_and_b32_e32 v5, 3, v4
	v_ffbh_u32_e32 v7, v5
	v_min_u32_e32 v7, 32, v7
	v_subrev_u32_e32 v8, 29, v7
	v_bfe_u32 v6, v4, 2, 5
	v_lshlrev_b32_e32 v4, v8, v4
	v_sub_u32_e32 v7, 30, v7
	v_and_b32_e32 v4, 3, v4
	v_cmp_eq_u32_e32 vcc, 0, v6
	v_cndmask_b32_e32 v6, v6, v7, vcc
	v_cndmask_b32_e32 v4, v5, v4, vcc
	v_mov_b32_e32 v5, 0x37800000
	v_lshlrev_b32_e32 v4, 21, v4
	v_and_b32_e32 v3, 0x80000000, v3
	v_lshl_add_u32 v5, v6, 23, v5
	v_or3_b32 v3, v3, v5, v4
	v_cvt_f64_f32_e32 v[3:4], v3
.LBB9_643:
	s_or_b64 exec, exec, s[8:9]
	s_mov_b64 s[0:1], 0
	s_branch .LBB9_647
.LBB9_644:
	s_mov_b64 s[8:9], -1
                                        ; implicit-def: $vgpr3_vgpr4
	s_branch .LBB9_653
.LBB9_645:
	s_mov_b64 s[0:1], -1
                                        ; implicit-def: $vgpr3_vgpr4
	s_branch .LBB9_650
.LBB9_646:
	s_mov_b64 s[0:1], -1
                                        ; implicit-def: $vgpr3_vgpr4
.LBB9_647:
	s_and_b64 vcc, exec, s[0:1]
	s_cbranch_vccz .LBB9_649
; %bb.648:
	global_load_ubyte v3, v[0:1], off
	s_mov_b32 s0, 0x7f800000
	s_waitcnt vmcnt(0)
	v_lshlrev_b32_e32 v3, 24, v3
	v_and_b32_e32 v4, 0x7f000000, v3
	v_ffbh_u32_e32 v5, v4
	v_min_u32_e32 v5, 32, v5
	v_sub_u32_e64 v5, v5, 4 clamp
	v_lshlrev_b32_e32 v7, v5, v4
	v_lshlrev_b32_e32 v5, 23, v5
	v_lshrrev_b32_e32 v7, 4, v7
	v_add_u32_e32 v6, 0x1000000, v4
	v_sub_u32_e32 v5, v7, v5
	v_ashrrev_i32_e32 v6, 8, v6
	v_add_u32_e32 v5, 0x3c000000, v5
	v_and_or_b32 v5, v6, s0, v5
	v_cmp_ne_u32_e32 vcc, 0, v4
	v_cndmask_b32_e32 v4, 0, v5, vcc
	s_brev_b32 s0, 1
	v_and_or_b32 v3, v3, s0, v4
	v_cvt_f64_f32_e32 v[3:4], v3
.LBB9_649:
	s_mov_b64 s[0:1], 0
.LBB9_650:
	s_andn2_b64 vcc, exec, s[0:1]
	s_cbranch_vccnz .LBB9_652
; %bb.651:
	global_load_ubyte v3, v[0:1], off
	s_movk_i32 s0, 0x7f00
	s_brev_b32 s1, 16
	s_waitcnt vmcnt(0)
	v_lshlrev_b16_e32 v4, 8, v3
	v_lshlrev_b32_e32 v3, 25, v3
	v_lshrrev_b32_e32 v5, 4, v3
	v_and_or_b32 v6, v4, s0, 0.5
	v_or_b32_e32 v5, 0x70000000, v5
	v_add_f32_e32 v6, -0.5, v6
	v_mul_f32_e32 v5, 0x7800000, v5
	v_cmp_gt_u32_e32 vcc, s1, v3
	v_bfe_i32 v4, v4, 0, 16
	v_cndmask_b32_e32 v3, v5, v6, vcc
	s_brev_b32 s0, 1
	v_and_or_b32 v3, v4, s0, v3
	v_cvt_f64_f32_e32 v[3:4], v3
.LBB9_652:
	s_mov_b64 s[8:9], 0
	s_mov_b64 s[0:1], -1
.LBB9_653:
	s_andn2_b64 vcc, exec, s[8:9]
	s_cbranch_vccnz .LBB9_664
; %bb.654:
	s_cmp_gt_i32 s12, 14
	s_cbranch_scc0 .LBB9_657
; %bb.655:
	s_cmp_eq_u32 s12, 15
	s_cbranch_scc0 .LBB9_658
; %bb.656:
	global_load_ushort v3, v[0:1], off
	s_mov_b64 s[0:1], -1
	s_mov_b64 s[2:3], 0
	s_waitcnt vmcnt(0)
	v_lshlrev_b32_e32 v3, 16, v3
	v_cvt_f64_f32_e32 v[3:4], v3
	s_branch .LBB9_659
.LBB9_657:
	s_mov_b64 s[8:9], -1
                                        ; implicit-def: $vgpr3_vgpr4
	s_branch .LBB9_660
.LBB9_658:
	s_mov_b64 s[2:3], -1
                                        ; implicit-def: $vgpr3_vgpr4
.LBB9_659:
	s_mov_b64 s[8:9], 0
.LBB9_660:
	s_and_b64 vcc, exec, s[8:9]
	s_cbranch_vccz .LBB9_664
; %bb.661:
	s_cmp_eq_u32 s12, 11
	s_cbranch_scc0 .LBB9_663
; %bb.662:
	global_load_ubyte v4, v[0:1], off
	v_mov_b32_e32 v5, 0x3ff00000
	s_waitcnt vmcnt(1)
	v_mov_b32_e32 v3, 0
	s_mov_b64 s[0:1], -1
	s_mov_b64 s[2:3], 0
	s_waitcnt vmcnt(0)
	v_cmp_ne_u16_e32 vcc, 0, v4
	v_cndmask_b32_e32 v4, 0, v5, vcc
	s_branch .LBB9_664
.LBB9_663:
	s_mov_b64 s[2:3], -1
                                        ; implicit-def: $vgpr3_vgpr4
.LBB9_664:
	s_mov_b64 s[8:9], 0
.LBB9_665:
	s_and_b64 vcc, exec, s[8:9]
	s_cbranch_vccz .LBB9_714
; %bb.666:
	s_cmp_lt_i32 s12, 5
	s_cbranch_scc1 .LBB9_671
; %bb.667:
	s_cmp_lt_i32 s12, 8
	s_cbranch_scc1 .LBB9_672
	;; [unrolled: 3-line block ×3, first 2 shown]
; %bb.669:
	s_cmp_gt_i32 s12, 9
	s_cbranch_scc0 .LBB9_674
; %bb.670:
	global_load_dwordx2 v[3:4], v[0:1], off
	s_mov_b64 s[0:1], 0
	s_branch .LBB9_675
.LBB9_671:
	s_mov_b64 s[0:1], -1
                                        ; implicit-def: $vgpr3_vgpr4
	s_branch .LBB9_693
.LBB9_672:
	s_mov_b64 s[0:1], -1
                                        ; implicit-def: $vgpr3_vgpr4
	s_branch .LBB9_681
.LBB9_673:
	s_mov_b64 s[0:1], -1
                                        ; implicit-def: $vgpr3_vgpr4
	s_branch .LBB9_678
.LBB9_674:
	s_mov_b64 s[0:1], -1
                                        ; implicit-def: $vgpr3_vgpr4
.LBB9_675:
	s_andn2_b64 vcc, exec, s[0:1]
	s_cbranch_vccnz .LBB9_677
; %bb.676:
	global_load_dword v3, v[0:1], off
	s_waitcnt vmcnt(0)
	v_cvt_f64_f32_e32 v[3:4], v3
.LBB9_677:
	s_mov_b64 s[0:1], 0
.LBB9_678:
	s_andn2_b64 vcc, exec, s[0:1]
	s_cbranch_vccnz .LBB9_680
; %bb.679:
	global_load_dword v3, v[0:1], off
	s_waitcnt vmcnt(0)
	v_cvt_f32_f16_e32 v3, v3
	v_cvt_f64_f32_e32 v[3:4], v3
.LBB9_680:
	s_mov_b64 s[0:1], 0
.LBB9_681:
	s_andn2_b64 vcc, exec, s[0:1]
	s_cbranch_vccnz .LBB9_692
; %bb.682:
	s_cmp_lt_i32 s12, 6
	s_cbranch_scc1 .LBB9_685
; %bb.683:
	s_cmp_gt_i32 s12, 6
	s_cbranch_scc0 .LBB9_686
; %bb.684:
	global_load_dwordx2 v[3:4], v[0:1], off
	s_mov_b64 s[0:1], 0
	s_branch .LBB9_687
.LBB9_685:
	s_mov_b64 s[0:1], -1
                                        ; implicit-def: $vgpr3_vgpr4
	s_branch .LBB9_690
.LBB9_686:
	s_mov_b64 s[0:1], -1
                                        ; implicit-def: $vgpr3_vgpr4
.LBB9_687:
	s_andn2_b64 vcc, exec, s[0:1]
	s_cbranch_vccnz .LBB9_689
; %bb.688:
	global_load_dword v3, v[0:1], off
	s_waitcnt vmcnt(0)
	v_cvt_f64_f32_e32 v[3:4], v3
.LBB9_689:
	s_mov_b64 s[0:1], 0
.LBB9_690:
	s_andn2_b64 vcc, exec, s[0:1]
	s_cbranch_vccnz .LBB9_692
; %bb.691:
	global_load_ushort v3, v[0:1], off
	s_waitcnt vmcnt(0)
	v_cvt_f32_f16_e32 v3, v3
	v_cvt_f64_f32_e32 v[3:4], v3
.LBB9_692:
	s_mov_b64 s[0:1], 0
.LBB9_693:
	s_andn2_b64 vcc, exec, s[0:1]
	s_cbranch_vccnz .LBB9_713
; %bb.694:
	s_cmp_lt_i32 s12, 2
	s_cbranch_scc1 .LBB9_698
; %bb.695:
	s_cmp_lt_i32 s12, 3
	s_cbranch_scc1 .LBB9_699
; %bb.696:
	s_cmp_gt_i32 s12, 3
	s_cbranch_scc0 .LBB9_700
; %bb.697:
	global_load_dwordx2 v[3:4], v[0:1], off
	s_mov_b64 s[0:1], 0
	s_waitcnt vmcnt(0)
	v_cvt_f64_i32_e32 v[4:5], v4
	v_cvt_f64_u32_e32 v[6:7], v3
	v_ldexp_f64 v[4:5], v[4:5], 32
	v_add_f64 v[3:4], v[4:5], v[6:7]
	s_branch .LBB9_701
.LBB9_698:
	s_mov_b64 s[0:1], -1
                                        ; implicit-def: $vgpr3_vgpr4
	s_branch .LBB9_707
.LBB9_699:
	s_mov_b64 s[0:1], -1
                                        ; implicit-def: $vgpr3_vgpr4
	s_branch .LBB9_704
.LBB9_700:
	s_mov_b64 s[0:1], -1
                                        ; implicit-def: $vgpr3_vgpr4
.LBB9_701:
	s_andn2_b64 vcc, exec, s[0:1]
	s_cbranch_vccnz .LBB9_703
; %bb.702:
	global_load_dword v3, v[0:1], off
	s_waitcnt vmcnt(0)
	v_cvt_f64_i32_e32 v[3:4], v3
.LBB9_703:
	s_mov_b64 s[0:1], 0
.LBB9_704:
	s_andn2_b64 vcc, exec, s[0:1]
	s_cbranch_vccnz .LBB9_706
; %bb.705:
	global_load_sshort v3, v[0:1], off
	s_waitcnt vmcnt(0)
	v_cvt_f64_i32_e32 v[3:4], v3
.LBB9_706:
	s_mov_b64 s[0:1], 0
.LBB9_707:
	s_andn2_b64 vcc, exec, s[0:1]
	s_cbranch_vccnz .LBB9_713
; %bb.708:
	s_cmp_gt_i32 s12, 0
	s_cbranch_scc0 .LBB9_710
; %bb.709:
	global_load_sbyte v3, v[0:1], off
	s_mov_b64 s[0:1], 0
	s_waitcnt vmcnt(0)
	v_cvt_f64_i32_e32 v[3:4], v3
	s_branch .LBB9_711
.LBB9_710:
	s_mov_b64 s[0:1], -1
                                        ; implicit-def: $vgpr3_vgpr4
.LBB9_711:
	s_andn2_b64 vcc, exec, s[0:1]
	s_cbranch_vccnz .LBB9_713
; %bb.712:
	global_load_ubyte v0, v[0:1], off
	s_waitcnt vmcnt(0)
	v_cvt_f64_u32_e32 v[3:4], v0
.LBB9_713:
	s_mov_b64 s[0:1], -1
.LBB9_714:
	s_andn2_b64 vcc, exec, s[0:1]
	s_cbranch_vccnz .LBB9_734
; %bb.715:
	s_mov_b32 s0, 0
	s_mov_b32 s1, 0x40200000
	s_waitcnt vmcnt(0)
	v_cmp_le_f64_e64 s[0:1], |v[3:4]|, s[0:1]
                                        ; implicit-def: $vgpr0_vgpr1
	s_and_saveexec_b64 s[8:9], s[0:1]
	s_xor_b64 s[0:1], exec, s[8:9]
	s_cbranch_execz .LBB9_721
; %bb.716:
	v_fma_f64 v[0:1], |v[3:4]|, 0.5, -2.0
	v_mov_b32_e32 v5, 0xc38a0576
	v_mov_b32_e32 v6, 0xbc7857d0
	s_mov_b32 s9, 0x3c499f2a
	s_mov_b32 s8, 0xc3c4014
	;; [unrolled: 1-line block ×4, first 2 shown]
	v_mov_b32_e32 v14, 0xfca7ab0c
	v_fma_f64 v[5:6], v[0:1], s[8:9], v[5:6]
	s_mov_b32 s9, 0xbc499f2a
	v_mov_b32_e32 v15, 0x3e928af3
	v_cmp_ngt_f64_e32 vcc, 0, v[3:4]
	v_fma_f64 v[7:8], v[0:1], v[5:6], s[8:9]
	s_mov_b32 s8, 0xe593bfac
	s_mov_b32 s9, 0x3ca663e3
	v_add_f64 v[7:8], v[7:8], s[8:9]
	s_mov_b32 s8, 0x7e0d1573
	s_mov_b32 s9, 0xbcd3eaaa
	v_fma_f64 v[5:6], v[0:1], v[7:8], -v[5:6]
	v_add_f64 v[5:6], v[5:6], s[8:9]
	s_mov_b32 s8, 0x615290c
	s_mov_b32 s9, 0x3d011d7f
	v_fma_f64 v[7:8], v[0:1], v[5:6], -v[7:8]
	;; [unrolled: 4-line block ×20, first 2 shown]
	v_add_f64 v[7:8], v[7:8], s[8:9]
	s_mov_b32 s8, 0x652b82fe
	s_mov_b32 s9, 0x3ff71547
	v_mul_f64 v[9:10], |v[3:4]|, s[8:9]
	s_mov_b32 s8, 0x7913a26a
	s_mov_b32 s9, 0xbf85a29f
	v_fma_f64 v[5:6], v[0:1], v[7:8], -v[5:6]
	v_rndne_f64_e32 v[9:10], v[9:10]
	v_add_f64 v[5:6], v[5:6], s[8:9]
	s_mov_b32 s8, 0xfefa39ef
	s_mov_b32 s9, 0xbfe62e42
	v_fma_f64 v[12:13], v[9:10], s[8:9], |v[3:4]|
	s_mov_b32 s8, 0xe7bb2349
	s_mov_b32 s9, 0x3f9951e3
	v_fma_f64 v[7:8], v[0:1], v[5:6], -v[7:8]
	v_fma_f64 v[12:13], v[9:10], s[10:11], v[12:13]
	s_mov_b32 s10, 0x623fde64
	s_mov_b32 s11, 0x3ec71dee
	v_cvt_i32_f64_e32 v9, v[9:10]
	v_add_f64 v[7:8], v[7:8], s[8:9]
	s_mov_b32 s8, 0x6a5dcb37
	s_mov_b32 s9, 0x3e5ade15
	v_fma_f64 v[14:15], v[12:13], s[8:9], v[14:15]
	s_mov_b32 s8, 0x537c9ebc
	s_mov_b32 s9, 0xbfab1bbc
	v_fma_f64 v[5:6], v[0:1], v[7:8], -v[5:6]
	v_fma_f64 v[14:15], v[12:13], v[14:15], s[10:11]
	s_mov_b32 s10, 0x14761f6e
	s_mov_b32 s11, 0x3f2a01a0
	v_add_f64 v[5:6], v[5:6], s[8:9]
	s_mov_b32 s8, 0x7c89e6b0
	s_mov_b32 s9, 0x3efa0199
	v_fma_f64 v[14:15], v[12:13], v[14:15], s[8:9]
	s_mov_b32 s8, 0xd536f53c
	s_mov_b32 s9, 0x3fba46da
	v_fma_f64 v[7:8], v[0:1], v[5:6], -v[7:8]
	v_fma_f64 v[14:15], v[12:13], v[14:15], s[10:11]
	s_mov_b32 s10, 0x11122322
	s_mov_b32 s11, 0x3f811111
	;; [unrolled: 10-line block ×3, first 2 shown]
	v_add_f64 v[5:6], v[5:6], s[8:9]
	s_mov_b32 s8, 0x555502a1
	s_mov_b32 s9, 0x3fa55555
	v_fma_f64 v[0:1], v[0:1], v[5:6], -v[7:8]
	v_fma_f64 v[5:6], v[12:13], v[14:15], s[8:9]
	s_mov_b32 s8, 0x724a7ffa
	s_mov_b32 s9, 0x3fd02a63
	v_add_f64 v[0:1], v[0:1], s[8:9]
	v_fma_f64 v[5:6], v[12:13], v[5:6], s[10:11]
	s_mov_b32 s8, 11
	s_mov_b32 s9, 0x3fe00000
	v_add_f64 v[0:1], v[0:1], -v[7:8]
	v_fma_f64 v[5:6], v[12:13], v[5:6], s[8:9]
	v_mul_f64 v[0:1], v[0:1], 0.5
	v_fma_f64 v[7:8], v[12:13], v[5:6], 1.0
	v_mul_f64 v[5:6], |v[3:4]|, v[0:1]
	v_fma_f64 v[7:8], v[12:13], v[7:8], 1.0
                                        ; implicit-def: $vgpr0_vgpr1
	s_and_saveexec_b64 s[8:9], vcc
	s_xor_b64 s[8:9], exec, s[8:9]
	s_cbranch_execz .LBB9_718
; %bb.717:
	s_mov_b32 s10, 0
	s_mov_b32 s11, 0x40900000
	v_ldexp_f64 v[0:1], v[7:8], v9
	v_cmp_ngt_f64_e64 vcc, |v[3:4]|, s[10:11]
	v_mov_b32_e32 v7, 0x7ff00000
                                        ; implicit-def: $vgpr9
                                        ; implicit-def: $vgpr3_vgpr4
	v_cndmask_b32_e32 v1, v7, v1, vcc
	v_cndmask_b32_e32 v0, 0, v0, vcc
	v_mul_f64 v[0:1], v[0:1], v[5:6]
                                        ; implicit-def: $vgpr7_vgpr8
                                        ; implicit-def: $vgpr5_vgpr6
.LBB9_718:
	s_andn2_saveexec_b64 s[8:9], s[8:9]
	s_cbranch_execz .LBB9_720
; %bb.719:
	s_mov_b32 s10, 0
	s_mov_b32 s11, 0x40900000
	v_ldexp_f64 v[0:1], -v[7:8], v9
	v_cmp_ngt_f64_e64 vcc, |v[3:4]|, s[10:11]
	v_mov_b32_e32 v7, 0xfff00000
	v_cndmask_b32_e32 v1, v7, v1, vcc
	v_cndmask_b32_e32 v0, 0, v0, vcc
	v_mul_f64 v[0:1], v[0:1], v[5:6]
.LBB9_720:
	s_or_b64 exec, exec, s[8:9]
                                        ; implicit-def: $vgpr3_vgpr4
.LBB9_721:
	s_andn2_saveexec_b64 s[8:9], s[0:1]
	s_cbranch_execz .LBB9_727
; %bb.722:
	s_mov_b32 s0, 0
	v_and_b32_e32 v1, 0x7fffffff, v4
	v_mov_b32_e32 v0, v3
	s_mov_b32 s1, 0x40400000
	v_div_scale_f64 v[5:6], s[10:11], v[0:1], v[0:1], s[0:1]
	v_div_scale_f64 v[0:1], vcc, s[0:1], v[0:1], s[0:1]
	v_mov_b32_e32 v14, 0xfca7ab0c
	v_mov_b32_e32 v15, 0x3e928af3
	v_rcp_f64_e32 v[7:8], v[5:6]
	v_fma_f64 v[9:10], -v[5:6], v[7:8], 1.0
	v_fma_f64 v[7:8], v[7:8], v[9:10], v[7:8]
	v_fma_f64 v[9:10], -v[5:6], v[7:8], 1.0
	v_fma_f64 v[7:8], v[7:8], v[9:10], v[7:8]
	v_mul_f64 v[9:10], v[0:1], v[7:8]
	v_fma_f64 v[0:1], -v[5:6], v[9:10], v[0:1]
	v_mov_b32_e32 v5, 0xea87b950
	v_mov_b32_e32 v6, 0x3c545b8a
	v_div_fmas_f64 v[0:1], v[0:1], v[7:8], v[9:10]
	v_cmp_ngt_f64_e32 vcc, 0, v[3:4]
	v_div_fixup_f64 v[0:1], v[0:1], |v[3:4]|, s[0:1]
	s_mov_b32 s1, 0x3c61556d
	s_mov_b32 s0, 0xb352e8e6
	v_add_f64 v[0:1], v[0:1], -2.0
	v_fma_f64 v[5:6], v[0:1], s[0:1], v[5:6]
	s_mov_b32 s1, 0xbc61556d
	v_fma_f64 v[7:8], v[0:1], v[5:6], s[0:1]
	s_mov_b32 s0, 0xb2532277
	s_mov_b32 s1, 0xbc8acea3
	v_add_f64 v[7:8], v[7:8], s[0:1]
	s_mov_b32 s0, 0x9c773320
	s_mov_b32 s1, 0xbc82806c
	v_fma_f64 v[5:6], v[0:1], v[7:8], -v[5:6]
	v_add_f64 v[5:6], v[5:6], s[0:1]
	s_mov_b32 s0, 0xfceb588a
	s_mov_b32 s1, 0x3cb55915
	v_fma_f64 v[7:8], v[0:1], v[5:6], -v[7:8]
	;; [unrolled: 4-line block ×14, first 2 shown]
	v_add_f64 v[7:8], v[7:8], s[0:1]
	s_mov_b32 s0, 0x652b82fe
	s_mov_b32 s1, 0x3ff71547
	v_mul_f64 v[9:10], |v[3:4]|, s[0:1]
	s_mov_b32 s0, 0x5423dd80
	s_mov_b32 s1, 0xbe0334ca
	v_fma_f64 v[5:6], v[0:1], v[7:8], -v[5:6]
	v_rndne_f64_e32 v[9:10], v[9:10]
	v_add_f64 v[5:6], v[5:6], s[0:1]
	s_mov_b32 s0, 0xfefa39ef
	s_mov_b32 s1, 0xbfe62e42
	v_fma_f64 v[12:13], v[9:10], s[0:1], |v[3:4]|
	s_mov_b32 s0, 0x9ad53528
	s_mov_b32 s1, 0xbe30790b
	v_fma_f64 v[7:8], v[0:1], v[5:6], -v[7:8]
	v_add_f64 v[7:8], v[7:8], s[0:1]
	s_mov_b32 s0, 0x3b39803f
	s_mov_b32 s1, 0xbc7abc9e
	v_fma_f64 v[12:13], v[9:10], s[0:1], v[12:13]
	s_mov_b32 s0, 0x6a5dcb37
	s_mov_b32 s1, 0x3e5ade15
	v_cvt_i32_f64_e32 v9, v[9:10]
	v_fma_f64 v[5:6], v[0:1], v[7:8], -v[5:6]
	v_fma_f64 v[14:15], v[12:13], s[0:1], v[14:15]
	s_mov_b32 s0, 0x94bb46c1
	s_mov_b32 s1, 0xbe5c4153
	v_add_f64 v[5:6], v[5:6], s[0:1]
	s_mov_b32 s0, 0x623fde64
	s_mov_b32 s1, 0x3ec71dee
	v_fma_f64 v[14:15], v[12:13], v[14:15], s[0:1]
	s_mov_b32 s0, 0x7c89e6b0
	s_mov_b32 s1, 0x3efa0199
	v_fma_f64 v[7:8], v[0:1], v[5:6], -v[7:8]
	v_fma_f64 v[14:15], v[12:13], v[14:15], s[0:1]
	s_mov_b32 s0, 0x2e9e5443
	s_mov_b32 s1, 0xbe90dbfd
	v_add_f64 v[7:8], v[7:8], s[0:1]
	s_mov_b32 s0, 0x14761f6e
	s_mov_b32 s1, 0x3f2a01a0
	v_fma_f64 v[14:15], v[12:13], v[14:15], s[0:1]
	s_mov_b32 s0, 0x1852b7b0
	s_mov_b32 s1, 0x3f56c16c
	;; [unrolled: 10-line block ×4, first 2 shown]
	v_fma_f64 v[5:6], v[0:1], v[7:8], -v[5:6]
	v_fma_f64 v[14:15], v[12:13], v[14:15], s[0:1]
	s_mov_b32 s0, 0x53fcdb4c
	s_mov_b32 s1, 0xbf83fda0
	v_add_f64 v[5:6], v[5:6], s[0:1]
	s_mov_b32 s0, 0xb55b1514
	s_mov_b32 s1, 0x3fe8ea18
	v_fma_f64 v[14:15], v[12:13], v[14:15], 1.0
	v_fma_f64 v[0:1], v[0:1], v[5:6], -v[7:8]
	v_fma_f64 v[5:6], v[12:13], v[14:15], 1.0
	v_add_f64 v[0:1], v[0:1], s[0:1]
	s_mov_b32 s0, 0
	s_mov_b32 s1, 0x40900000
	v_ldexp_f64 v[5:6], v[5:6], v9
	v_cmp_ngt_f64_e64 s[0:1], |v[3:4]|, s[0:1]
	v_mov_b32_e32 v9, 0x7ff00000
	v_add_f64 v[7:8], v[0:1], -v[7:8]
                                        ; implicit-def: $vgpr0_vgpr1
	v_cndmask_b32_e64 v6, v9, v6, s[0:1]
	v_cndmask_b32_e64 v5, 0, v5, s[0:1]
	s_and_saveexec_b64 s[0:1], vcc
	s_xor_b64 s[0:1], exec, s[0:1]
	s_cbranch_execz .LBB9_724
; %bb.723:
	s_mov_b32 s10, 0
	s_brev_b32 s11, 8
	v_cmp_lt_f64_e64 vcc, |v[3:4]|, s[10:11]
	v_mov_b32_e32 v0, 0x100
	v_mul_f64 v[7:8], v[7:8], 0.5
	v_cndmask_b32_e32 v0, 0, v0, vcc
	v_ldexp_f64 v[0:1], |v[3:4]|, v0
	v_mul_f64 v[5:6], v[5:6], v[7:8]
	v_rsq_f64_e32 v[3:4], v[0:1]
	v_mul_f64 v[9:10], v[0:1], v[3:4]
	v_mul_f64 v[3:4], v[3:4], 0.5
	v_fma_f64 v[12:13], -v[3:4], v[9:10], 0.5
	v_fma_f64 v[9:10], v[9:10], v[12:13], v[9:10]
	v_fma_f64 v[3:4], v[3:4], v[12:13], v[3:4]
	v_fma_f64 v[12:13], -v[9:10], v[9:10], v[0:1]
	v_fma_f64 v[9:10], v[12:13], v[3:4], v[9:10]
	v_fma_f64 v[12:13], -v[9:10], v[9:10], v[0:1]
	v_fma_f64 v[3:4], v[12:13], v[3:4], v[9:10]
	v_mov_b32_e32 v9, 0xffffff80
	v_mov_b32_e32 v10, 0x260
	v_cndmask_b32_e32 v9, 0, v9, vcc
	v_cmp_class_f64_e32 vcc, v[0:1], v10
	v_ldexp_f64 v[3:4], v[3:4], v9
	v_cndmask_b32_e32 v1, v4, v1, vcc
	v_cndmask_b32_e32 v0, v3, v0, vcc
	v_div_scale_f64 v[3:4], s[10:11], v[0:1], v[0:1], v[5:6]
	v_div_scale_f64 v[12:13], vcc, v[5:6], v[0:1], v[5:6]
	v_rcp_f64_e32 v[7:8], v[3:4]
	v_fma_f64 v[9:10], -v[3:4], v[7:8], 1.0
	v_fma_f64 v[7:8], v[7:8], v[9:10], v[7:8]
	v_fma_f64 v[9:10], -v[3:4], v[7:8], 1.0
	v_fma_f64 v[7:8], v[7:8], v[9:10], v[7:8]
	v_mul_f64 v[9:10], v[12:13], v[7:8]
	v_fma_f64 v[3:4], -v[3:4], v[9:10], v[12:13]
	v_div_fmas_f64 v[3:4], v[3:4], v[7:8], v[9:10]
                                        ; implicit-def: $vgpr7_vgpr8
	v_div_fixup_f64 v[0:1], v[3:4], v[0:1], v[5:6]
                                        ; implicit-def: $vgpr3_vgpr4
                                        ; implicit-def: $vgpr5_vgpr6
.LBB9_724:
	s_andn2_saveexec_b64 s[0:1], s[0:1]
	s_cbranch_execz .LBB9_726
; %bb.725:
	s_mov_b32 s10, 0
	s_brev_b32 s11, 8
	v_cmp_lt_f64_e64 vcc, |v[3:4]|, s[10:11]
	v_mov_b32_e32 v0, 0x100
	v_mul_f64 v[7:8], v[7:8], -0.5
	v_cndmask_b32_e32 v0, 0, v0, vcc
	v_ldexp_f64 v[0:1], |v[3:4]|, v0
	v_mul_f64 v[5:6], v[5:6], v[7:8]
	v_rsq_f64_e32 v[3:4], v[0:1]
	v_mul_f64 v[9:10], v[0:1], v[3:4]
	v_mul_f64 v[3:4], v[3:4], 0.5
	v_fma_f64 v[12:13], -v[3:4], v[9:10], 0.5
	v_fma_f64 v[9:10], v[9:10], v[12:13], v[9:10]
	v_fma_f64 v[3:4], v[3:4], v[12:13], v[3:4]
	v_fma_f64 v[12:13], -v[9:10], v[9:10], v[0:1]
	v_fma_f64 v[9:10], v[12:13], v[3:4], v[9:10]
	v_fma_f64 v[12:13], -v[9:10], v[9:10], v[0:1]
	v_fma_f64 v[3:4], v[12:13], v[3:4], v[9:10]
	v_mov_b32_e32 v9, 0xffffff80
	v_mov_b32_e32 v10, 0x260
	v_cndmask_b32_e32 v9, 0, v9, vcc
	v_cmp_class_f64_e32 vcc, v[0:1], v10
	v_ldexp_f64 v[3:4], v[3:4], v9
	v_cndmask_b32_e32 v1, v4, v1, vcc
	v_cndmask_b32_e32 v0, v3, v0, vcc
	v_div_scale_f64 v[3:4], s[10:11], v[0:1], v[0:1], v[5:6]
	v_div_scale_f64 v[12:13], vcc, v[5:6], v[0:1], v[5:6]
	v_rcp_f64_e32 v[7:8], v[3:4]
	v_fma_f64 v[9:10], -v[3:4], v[7:8], 1.0
	v_fma_f64 v[7:8], v[7:8], v[9:10], v[7:8]
	v_fma_f64 v[9:10], -v[3:4], v[7:8], 1.0
	v_fma_f64 v[7:8], v[7:8], v[9:10], v[7:8]
	v_mul_f64 v[9:10], v[12:13], v[7:8]
	v_fma_f64 v[3:4], -v[3:4], v[9:10], v[12:13]
	v_div_fmas_f64 v[3:4], v[3:4], v[7:8], v[9:10]
	v_div_fixup_f64 v[0:1], v[3:4], v[0:1], v[5:6]
.LBB9_726:
	s_or_b64 exec, exec, s[0:1]
.LBB9_727:
	s_or_b64 exec, exec, s[8:9]
	v_mov_b32_e32 v3, s25
	s_and_b32 s14, s73, 0xff
	v_add_co_u32_e32 v4, vcc, s24, v2
	s_cmp_lt_i32 s14, 11
	v_addc_co_u32_e32 v5, vcc, 0, v3, vcc
	s_cbranch_scc1 .LBB9_735
; %bb.728:
	s_and_b32 s15, 0xffff, s14
	s_cmp_gt_i32 s15, 25
	s_cbranch_scc0 .LBB9_736
; %bb.729:
	s_cmp_gt_i32 s15, 28
	s_cbranch_scc0 .LBB9_737
; %bb.730:
	;; [unrolled: 3-line block ×4, first 2 shown]
	s_mov_b64 s[10:11], 0
	s_mov_b64 s[0:1], -1
	s_cmp_eq_u32 s15, 46
	s_mov_b64 s[8:9], 0
	s_cbranch_scc0 .LBB9_740
; %bb.733:
	v_cvt_f32_f64_e32 v2, v[0:1]
	s_movk_i32 s0, 0x7fff
	v_mov_b32_e32 v3, 0x7fc0
	s_mov_b64 s[8:9], -1
	v_bfe_u32 v6, v2, 16, 1
	v_cmp_o_f32_e32 vcc, v2, v2
	v_add3_u32 v2, v2, v6, s0
	v_cndmask_b32_sdwa v2, v3, v2, vcc dst_sel:DWORD dst_unused:UNUSED_PAD src0_sel:DWORD src1_sel:WORD_1
	global_store_dword v[4:5], v2, off
	s_mov_b64 s[0:1], 0
	s_branch .LBB9_740
.LBB9_734:
	s_mov_b64 s[8:9], 0
	s_mov_b64 s[0:1], s[60:61]
	s_branch .LBB9_851
.LBB9_735:
	s_mov_b64 s[10:11], -1
	s_mov_b64 s[8:9], 0
	s_mov_b64 s[0:1], s[60:61]
	s_branch .LBB9_809
.LBB9_736:
	s_mov_b64 s[10:11], -1
	s_mov_b64 s[8:9], 0
	s_mov_b64 s[0:1], s[60:61]
	s_branch .LBB9_767
.LBB9_737:
	s_mov_b64 s[10:11], -1
	s_mov_b64 s[8:9], 0
	s_mov_b64 s[0:1], s[60:61]
	s_branch .LBB9_750
.LBB9_738:
	s_mov_b64 s[10:11], -1
	s_mov_b64 s[8:9], 0
	s_mov_b64 s[0:1], s[60:61]
	s_branch .LBB9_746
.LBB9_739:
	s_mov_b64 s[10:11], -1
	s_mov_b64 s[8:9], 0
	s_mov_b64 s[0:1], s[60:61]
.LBB9_740:
	s_and_b64 vcc, exec, s[10:11]
	s_cbranch_vccz .LBB9_745
; %bb.741:
	s_cmp_eq_u32 s15, 44
	s_mov_b64 s[0:1], -1
	s_cbranch_scc0 .LBB9_745
; %bb.742:
	v_cvt_f32_f64_e32 v2, v[0:1]
	s_movk_i32 s0, 0xff
	v_mov_b32_e32 v6, 0xff
	v_bfe_u32 v3, v2, 23, 8
	v_cmp_ne_u32_e32 vcc, s0, v3
	s_and_saveexec_b64 s[8:9], vcc
; %bb.743:
	s_mov_b32 s0, 0x3fffff
	v_lshrrev_b32_e32 v6, 23, v2
	v_and_b32_e32 v7, 0x400000, v2
	v_and_or_b32 v2, v2, s0, v3
	v_cmp_ne_u32_e32 vcc, 0, v7
	v_cmp_ne_u32_e64 s[0:1], 0, v2
	s_and_b64 s[0:1], vcc, s[0:1]
	v_cndmask_b32_e64 v2, 0, 1, s[0:1]
	v_add_u32_e32 v6, v6, v2
; %bb.744:
	s_or_b64 exec, exec, s[8:9]
	s_mov_b64 s[8:9], -1
	s_mov_b64 s[0:1], 0
	global_store_byte v[4:5], v6, off
.LBB9_745:
	s_mov_b64 s[10:11], 0
.LBB9_746:
	s_and_b64 vcc, exec, s[10:11]
	s_cbranch_vccz .LBB9_749
; %bb.747:
	s_cmp_eq_u32 s15, 29
	s_mov_b64 s[0:1], -1
	s_cbranch_scc0 .LBB9_749
; %bb.748:
	v_trunc_f64_e32 v[2:3], v[0:1]
	s_movk_i32 s0, 0xffe0
	s_mov_b64 s[8:9], -1
	s_mov_b64 s[10:11], 0
	v_ldexp_f64 v[6:7], v[2:3], s0
	s_mov_b32 s0, 0
	s_mov_b32 s1, 0xc1f00000
	v_floor_f64_e32 v[6:7], v[6:7]
	v_fma_f64 v[2:3], v[6:7], s[0:1], v[2:3]
	v_cvt_u32_f64_e32 v7, v[6:7]
	s_mov_b64 s[0:1], 0
	v_cvt_u32_f64_e32 v6, v[2:3]
	global_store_dwordx2 v[4:5], v[6:7], off
	s_branch .LBB9_750
.LBB9_749:
	s_mov_b64 s[10:11], 0
.LBB9_750:
	s_and_b64 vcc, exec, s[10:11]
	s_cbranch_vccz .LBB9_766
; %bb.751:
	s_cmp_lt_i32 s15, 27
	s_mov_b64 s[8:9], -1
	s_cbranch_scc1 .LBB9_757
; %bb.752:
	v_cvt_u32_f64_e32 v2, v[0:1]
	s_cmp_gt_i32 s15, 27
	s_cbranch_scc0 .LBB9_754
; %bb.753:
	s_mov_b64 s[8:9], 0
	global_store_dword v[4:5], v2, off
.LBB9_754:
	s_andn2_b64 vcc, exec, s[8:9]
	s_cbranch_vccnz .LBB9_756
; %bb.755:
	global_store_short v[4:5], v2, off
.LBB9_756:
	s_mov_b64 s[8:9], 0
.LBB9_757:
	s_andn2_b64 vcc, exec, s[8:9]
	s_cbranch_vccnz .LBB9_765
; %bb.758:
	v_cvt_f32_f64_e32 v2, v[0:1]
	s_mov_b32 s8, 0x43800000
	v_mov_b32_e32 v6, 0x80
	v_and_b32_e32 v3, 0x7fffffff, v2
	v_cmp_gt_u32_e32 vcc, s8, v3
	s_and_saveexec_b64 s[8:9], vcc
	s_cbranch_execz .LBB9_764
; %bb.759:
	s_mov_b32 s10, 0x3bffffff
	v_cmp_lt_u32_e32 vcc, s10, v3
	s_mov_b64 s[10:11], 0
                                        ; implicit-def: $vgpr3
	s_and_saveexec_b64 s[12:13], vcc
	s_xor_b64 s[12:13], exec, s[12:13]
	s_cbranch_execz .LBB9_881
; %bb.760:
	v_bfe_u32 v3, v2, 20, 1
	s_mov_b32 s16, 0x487ffff
	v_add3_u32 v3, v2, v3, s16
	s_mov_b64 s[10:11], exec
	v_lshrrev_b32_e32 v3, 20, v3
	s_andn2_saveexec_b64 s[12:13], s[12:13]
	s_cbranch_execnz .LBB9_882
.LBB9_761:
	s_or_b64 exec, exec, s[12:13]
	v_mov_b32_e32 v6, 0
	s_and_saveexec_b64 s[12:13], s[10:11]
.LBB9_762:
	v_lshrrev_b32_e32 v2, 24, v2
	s_movk_i32 s10, 0x80
	v_and_or_b32 v6, v2, s10, v3
.LBB9_763:
	s_or_b64 exec, exec, s[12:13]
.LBB9_764:
	s_or_b64 exec, exec, s[8:9]
	global_store_byte v[4:5], v6, off
.LBB9_765:
	s_mov_b64 s[8:9], -1
.LBB9_766:
	s_mov_b64 s[10:11], 0
.LBB9_767:
	s_and_b64 vcc, exec, s[10:11]
	s_cbranch_vccz .LBB9_808
; %bb.768:
	s_cmp_gt_i32 s15, 22
	s_mov_b64 s[10:11], -1
	s_cbranch_scc0 .LBB9_800
; %bb.769:
	s_cmp_lt_i32 s15, 24
	s_mov_b64 s[8:9], -1
	s_cbranch_scc1 .LBB9_789
; %bb.770:
	s_cmp_gt_i32 s15, 24
	s_cbranch_scc0 .LBB9_778
; %bb.771:
	v_cvt_f32_f64_e32 v2, v[0:1]
	s_mov_b32 s8, 0x47800000
	v_mov_b32_e32 v6, 0x80
	v_and_b32_e32 v3, 0x7fffffff, v2
	v_cmp_gt_u32_e32 vcc, s8, v3
	s_and_saveexec_b64 s[8:9], vcc
	s_cbranch_execz .LBB9_777
; %bb.772:
	s_mov_b32 s10, 0x37ffffff
	v_cmp_lt_u32_e32 vcc, s10, v3
	s_mov_b64 s[10:11], 0
                                        ; implicit-def: $vgpr3
	s_and_saveexec_b64 s[12:13], vcc
	s_xor_b64 s[12:13], exec, s[12:13]
	s_cbranch_execz .LBB9_884
; %bb.773:
	v_bfe_u32 v3, v2, 21, 1
	s_mov_b32 s16, 0x88fffff
	v_add3_u32 v3, v2, v3, s16
	s_mov_b64 s[10:11], exec
	v_lshrrev_b32_e32 v3, 21, v3
	s_andn2_saveexec_b64 s[12:13], s[12:13]
	s_cbranch_execnz .LBB9_885
.LBB9_774:
	s_or_b64 exec, exec, s[12:13]
	v_mov_b32_e32 v6, 0
	s_and_saveexec_b64 s[12:13], s[10:11]
.LBB9_775:
	v_lshrrev_b32_e32 v2, 24, v2
	s_movk_i32 s10, 0x80
	v_and_or_b32 v6, v2, s10, v3
.LBB9_776:
	s_or_b64 exec, exec, s[12:13]
.LBB9_777:
	s_or_b64 exec, exec, s[8:9]
	s_mov_b64 s[8:9], 0
	global_store_byte v[4:5], v6, off
.LBB9_778:
	s_and_b64 vcc, exec, s[8:9]
	s_cbranch_vccz .LBB9_788
; %bb.779:
	v_cvt_f32_f64_e32 v2, v[0:1]
	s_mov_b32 s8, 0x43f00000
                                        ; implicit-def: $vgpr3
	v_and_b32_e32 v6, 0x7fffffff, v2
	v_cmp_gt_u32_e32 vcc, s8, v6
	s_and_saveexec_b64 s[8:9], vcc
	s_xor_b64 s[8:9], exec, s[8:9]
	s_cbranch_execz .LBB9_785
; %bb.780:
	s_mov_b32 s10, 0x3c7fffff
	v_cmp_lt_u32_e32 vcc, s10, v6
                                        ; implicit-def: $vgpr3
	s_and_saveexec_b64 s[10:11], vcc
	s_xor_b64 s[10:11], exec, s[10:11]
; %bb.781:
	v_bfe_u32 v3, v2, 20, 1
	s_mov_b32 s12, 0x407ffff
	v_add3_u32 v3, v2, v3, s12
	v_lshrrev_b32_e32 v6, 20, v3
	v_and_b32_e32 v3, 0xff00000, v3
	s_mov_b32 s12, 0x7f00000
	v_mov_b32_e32 v7, 0x7e
	v_cmp_ne_u32_e32 vcc, s12, v3
	v_cndmask_b32_e32 v3, v7, v6, vcc
; %bb.782:
	s_andn2_saveexec_b64 s[10:11], s[10:11]
; %bb.783:
	s_mov_b32 s12, 0x46800000
	v_add_f32_e64 v3, |v2|, s12
; %bb.784:
	s_or_b64 exec, exec, s[10:11]
                                        ; implicit-def: $vgpr6
.LBB9_785:
	s_andn2_saveexec_b64 s[8:9], s[8:9]
; %bb.786:
	s_mov_b32 s10, 0x7f800000
	v_mov_b32_e32 v3, 0x7e
	v_mov_b32_e32 v7, 0x7f
	v_cmp_lt_u32_e32 vcc, s10, v6
	v_cndmask_b32_e32 v3, v3, v7, vcc
; %bb.787:
	s_or_b64 exec, exec, s[8:9]
	v_lshrrev_b32_e32 v2, 24, v2
	s_movk_i32 s8, 0x80
	v_and_or_b32 v2, v2, s8, v3
	global_store_byte v[4:5], v2, off
.LBB9_788:
	s_mov_b64 s[8:9], 0
.LBB9_789:
	s_andn2_b64 vcc, exec, s[8:9]
	s_cbranch_vccnz .LBB9_799
; %bb.790:
	v_cvt_f32_f64_e32 v2, v[0:1]
	s_mov_b32 s8, 0x47800000
                                        ; implicit-def: $vgpr3
	v_and_b32_e32 v6, 0x7fffffff, v2
	v_cmp_gt_u32_e32 vcc, s8, v6
	s_and_saveexec_b64 s[8:9], vcc
	s_xor_b64 s[8:9], exec, s[8:9]
	s_cbranch_execz .LBB9_796
; %bb.791:
	s_mov_b32 s10, 0x387fffff
	v_cmp_lt_u32_e32 vcc, s10, v6
                                        ; implicit-def: $vgpr3
	s_and_saveexec_b64 s[10:11], vcc
	s_xor_b64 s[10:11], exec, s[10:11]
; %bb.792:
	v_bfe_u32 v3, v2, 21, 1
	s_mov_b32 s12, 0x80fffff
	v_add3_u32 v3, v2, v3, s12
	v_lshrrev_b32_e32 v3, 21, v3
; %bb.793:
	s_andn2_saveexec_b64 s[10:11], s[10:11]
; %bb.794:
	s_mov_b32 s12, 0x43000000
	v_add_f32_e64 v3, |v2|, s12
; %bb.795:
	s_or_b64 exec, exec, s[10:11]
                                        ; implicit-def: $vgpr6
.LBB9_796:
	s_andn2_saveexec_b64 s[8:9], s[8:9]
; %bb.797:
	s_mov_b32 s10, 0x7f800000
	v_mov_b32_e32 v3, 0x7c
	v_mov_b32_e32 v7, 0x7f
	v_cmp_lt_u32_e32 vcc, s10, v6
	v_cndmask_b32_e32 v3, v3, v7, vcc
; %bb.798:
	s_or_b64 exec, exec, s[8:9]
	v_lshrrev_b32_e32 v2, 24, v2
	s_movk_i32 s8, 0x80
	v_and_or_b32 v2, v2, s8, v3
	global_store_byte v[4:5], v2, off
.LBB9_799:
	s_mov_b64 s[10:11], 0
	s_mov_b64 s[8:9], -1
.LBB9_800:
	s_andn2_b64 vcc, exec, s[10:11]
	s_cbranch_vccnz .LBB9_808
; %bb.801:
	s_cmp_gt_i32 s15, 14
	s_mov_b64 s[10:11], -1
	s_cbranch_scc0 .LBB9_805
; %bb.802:
	s_cmp_eq_u32 s15, 15
	s_mov_b64 s[0:1], -1
	s_cbranch_scc0 .LBB9_804
; %bb.803:
	v_cvt_f32_f64_e32 v2, v[0:1]
	s_movk_i32 s0, 0x7fff
	v_mov_b32_e32 v3, 0x7fc0
	s_mov_b64 s[8:9], -1
	v_bfe_u32 v6, v2, 16, 1
	v_cmp_o_f32_e32 vcc, v2, v2
	v_add3_u32 v2, v2, v6, s0
	v_cndmask_b32_sdwa v2, v3, v2, vcc dst_sel:DWORD dst_unused:UNUSED_PAD src0_sel:DWORD src1_sel:WORD_1
	global_store_short v[4:5], v2, off
	s_mov_b64 s[0:1], 0
.LBB9_804:
	s_mov_b64 s[10:11], 0
.LBB9_805:
	s_and_b64 vcc, exec, s[10:11]
	s_cbranch_vccz .LBB9_808
; %bb.806:
	s_cmp_eq_u32 s15, 11
	s_mov_b64 s[0:1], -1
	s_cbranch_scc0 .LBB9_808
; %bb.807:
	v_cmp_neq_f64_e32 vcc, 0, v[0:1]
	s_mov_b64 s[0:1], 0
	s_mov_b64 s[8:9], -1
	v_cndmask_b32_e64 v2, 0, 1, vcc
	global_store_byte v[4:5], v2, off
.LBB9_808:
	s_mov_b64 s[10:11], 0
.LBB9_809:
	s_and_b64 vcc, exec, s[10:11]
	s_cbranch_vccz .LBB9_848
; %bb.810:
	s_and_b32 s10, 0xffff, s14
	s_cmp_lt_i32 s10, 5
	s_mov_b64 s[8:9], -1
	s_cbranch_scc1 .LBB9_831
; %bb.811:
	s_cmp_lt_i32 s10, 8
	s_cbranch_scc1 .LBB9_821
; %bb.812:
	s_cmp_lt_i32 s10, 9
	s_cbranch_scc1 .LBB9_818
; %bb.813:
	s_cmp_gt_i32 s10, 9
	s_cbranch_scc0 .LBB9_815
; %bb.814:
	v_mov_b32_e32 v2, 0
	v_mov_b32_e32 v3, v2
	s_mov_b64 s[8:9], 0
	global_store_dwordx4 v[4:5], v[0:3], off
.LBB9_815:
	s_andn2_b64 vcc, exec, s[8:9]
	s_cbranch_vccnz .LBB9_817
; %bb.816:
	v_cvt_f32_f64_e32 v2, v[0:1]
	v_mov_b32_e32 v3, 0
	global_store_dwordx2 v[4:5], v[2:3], off
.LBB9_817:
	s_mov_b64 s[8:9], 0
.LBB9_818:
	s_andn2_b64 vcc, exec, s[8:9]
	s_cbranch_vccnz .LBB9_820
; %bb.819:
	s_movk_i32 s8, 0x1ff
	v_and_or_b32 v2, v1, s8, v0
	v_cmp_ne_u32_e32 vcc, 0, v2
	v_cndmask_b32_e64 v2, 0, 1, vcc
	v_lshrrev_b32_e32 v3, 8, v1
	s_movk_i32 s8, 0xffe
	v_bfe_u32 v6, v1, 20, 11
	v_and_or_b32 v2, v3, s8, v2
	v_sub_u32_e32 v7, 0x3f1, v6
	v_or_b32_e32 v3, 0x1000, v2
	v_med3_i32 v7, v7, 0, 13
	v_lshrrev_b32_e32 v8, v7, v3
	v_lshlrev_b32_e32 v7, v7, v8
	v_cmp_ne_u32_e32 vcc, v7, v3
	v_cndmask_b32_e64 v3, 0, 1, vcc
	v_add_u32_e32 v6, 0xfffffc10, v6
	v_or_b32_e32 v3, v8, v3
	v_lshl_or_b32 v7, v6, 12, v2
	v_cmp_gt_i32_e32 vcc, 1, v6
	v_cndmask_b32_e32 v3, v7, v3, vcc
	v_and_b32_e32 v7, 7, v3
	v_cmp_lt_i32_e32 vcc, 5, v7
	v_cndmask_b32_e64 v8, 0, 1, vcc
	v_cmp_eq_u32_e32 vcc, 3, v7
	v_cndmask_b32_e64 v7, 0, 1, vcc
	v_or_b32_e32 v7, v7, v8
	v_lshrrev_b32_e32 v3, 2, v3
	v_add_u32_e32 v3, v3, v7
	v_mov_b32_e32 v7, 0x7c00
	v_cmp_gt_i32_e32 vcc, 31, v6
	v_cndmask_b32_e32 v3, v7, v3, vcc
	v_mov_b32_e32 v8, 0x7e00
	v_cmp_ne_u32_e32 vcc, 0, v2
	s_movk_i32 s8, 0x40f
	v_cndmask_b32_e32 v2, v7, v8, vcc
	v_cmp_eq_u32_e32 vcc, s8, v6
	v_cndmask_b32_e32 v2, v3, v2, vcc
	v_lshrrev_b32_e32 v3, 16, v1
	s_mov_b32 s8, 0x8000
	v_and_or_b32 v2, v3, s8, v2
	v_and_b32_e32 v2, 0xffff, v2
	global_store_dword v[4:5], v2, off
.LBB9_820:
	s_mov_b64 s[8:9], 0
.LBB9_821:
	s_andn2_b64 vcc, exec, s[8:9]
	s_cbranch_vccnz .LBB9_830
; %bb.822:
	s_cmp_lt_i32 s10, 6
	s_mov_b64 s[8:9], -1
	s_cbranch_scc1 .LBB9_828
; %bb.823:
	s_cmp_gt_i32 s10, 6
	s_cbranch_scc0 .LBB9_825
; %bb.824:
	s_mov_b64 s[8:9], 0
	global_store_dwordx2 v[4:5], v[0:1], off
.LBB9_825:
	s_andn2_b64 vcc, exec, s[8:9]
	s_cbranch_vccnz .LBB9_827
; %bb.826:
	v_cvt_f32_f64_e32 v2, v[0:1]
	global_store_dword v[4:5], v2, off
.LBB9_827:
	s_mov_b64 s[8:9], 0
.LBB9_828:
	s_andn2_b64 vcc, exec, s[8:9]
	s_cbranch_vccnz .LBB9_830
; %bb.829:
	s_movk_i32 s8, 0x1ff
	v_and_or_b32 v2, v1, s8, v0
	v_cmp_ne_u32_e32 vcc, 0, v2
	v_cndmask_b32_e64 v2, 0, 1, vcc
	v_lshrrev_b32_e32 v3, 8, v1
	s_movk_i32 s8, 0xffe
	v_bfe_u32 v6, v1, 20, 11
	v_and_or_b32 v2, v3, s8, v2
	v_sub_u32_e32 v7, 0x3f1, v6
	v_or_b32_e32 v3, 0x1000, v2
	v_med3_i32 v7, v7, 0, 13
	v_lshrrev_b32_e32 v8, v7, v3
	v_lshlrev_b32_e32 v7, v7, v8
	v_cmp_ne_u32_e32 vcc, v7, v3
	v_cndmask_b32_e64 v3, 0, 1, vcc
	v_add_u32_e32 v6, 0xfffffc10, v6
	v_or_b32_e32 v3, v8, v3
	v_lshl_or_b32 v7, v6, 12, v2
	v_cmp_gt_i32_e32 vcc, 1, v6
	v_cndmask_b32_e32 v3, v7, v3, vcc
	v_and_b32_e32 v7, 7, v3
	v_cmp_lt_i32_e32 vcc, 5, v7
	v_cndmask_b32_e64 v8, 0, 1, vcc
	v_cmp_eq_u32_e32 vcc, 3, v7
	v_cndmask_b32_e64 v7, 0, 1, vcc
	v_or_b32_e32 v7, v7, v8
	v_lshrrev_b32_e32 v3, 2, v3
	v_add_u32_e32 v3, v3, v7
	v_mov_b32_e32 v7, 0x7c00
	v_cmp_gt_i32_e32 vcc, 31, v6
	v_cndmask_b32_e32 v3, v7, v3, vcc
	v_mov_b32_e32 v8, 0x7e00
	v_cmp_ne_u32_e32 vcc, 0, v2
	s_movk_i32 s8, 0x40f
	v_cndmask_b32_e32 v2, v7, v8, vcc
	v_cmp_eq_u32_e32 vcc, s8, v6
	v_cndmask_b32_e32 v2, v3, v2, vcc
	v_lshrrev_b32_e32 v3, 16, v1
	s_mov_b32 s8, 0x8000
	v_and_or_b32 v2, v3, s8, v2
	global_store_short v[4:5], v2, off
.LBB9_830:
	s_mov_b64 s[8:9], 0
.LBB9_831:
	s_andn2_b64 vcc, exec, s[8:9]
	s_cbranch_vccnz .LBB9_847
; %bb.832:
	s_cmp_lt_i32 s10, 2
	s_mov_b64 s[8:9], -1
	s_cbranch_scc1 .LBB9_842
; %bb.833:
	s_cmp_lt_i32 s10, 3
	s_cbranch_scc1 .LBB9_839
; %bb.834:
	s_cmp_gt_i32 s10, 3
	s_cbranch_scc0 .LBB9_836
; %bb.835:
	v_trunc_f64_e32 v[2:3], v[0:1]
	s_movk_i32 s8, 0xffe0
	v_ldexp_f64 v[6:7], v[2:3], s8
	s_mov_b32 s8, 0
	s_mov_b32 s9, 0xc1f00000
	v_floor_f64_e32 v[6:7], v[6:7]
	v_fma_f64 v[2:3], v[6:7], s[8:9], v[2:3]
	v_cvt_i32_f64_e32 v7, v[6:7]
	s_mov_b64 s[8:9], 0
	v_cvt_u32_f64_e32 v6, v[2:3]
	global_store_dwordx2 v[4:5], v[6:7], off
.LBB9_836:
	s_andn2_b64 vcc, exec, s[8:9]
	s_cbranch_vccnz .LBB9_838
; %bb.837:
	v_cvt_i32_f64_e32 v2, v[0:1]
	global_store_dword v[4:5], v2, off
.LBB9_838:
	s_mov_b64 s[8:9], 0
.LBB9_839:
	s_andn2_b64 vcc, exec, s[8:9]
	s_cbranch_vccnz .LBB9_841
; %bb.840:
	v_cvt_i32_f64_e32 v2, v[0:1]
	global_store_short v[4:5], v2, off
.LBB9_841:
	s_mov_b64 s[8:9], 0
.LBB9_842:
	s_andn2_b64 vcc, exec, s[8:9]
	s_cbranch_vccnz .LBB9_847
; %bb.843:
	s_cmp_gt_i32 s10, 0
	s_mov_b64 s[8:9], -1
	s_cbranch_scc0 .LBB9_845
; %bb.844:
	v_cvt_i32_f64_e32 v2, v[0:1]
	s_mov_b64 s[8:9], 0
	global_store_byte v[4:5], v2, off
.LBB9_845:
	s_andn2_b64 vcc, exec, s[8:9]
	s_cbranch_vccnz .LBB9_847
; %bb.846:
	v_trunc_f64_e32 v[0:1], v[0:1]
	s_movk_i32 s8, 0xffe0
	v_ldexp_f64 v[2:3], v[0:1], s8
	s_mov_b32 s8, 0
	s_mov_b32 s9, 0xc1f00000
	v_floor_f64_e32 v[2:3], v[2:3]
	v_fma_f64 v[0:1], v[2:3], s[8:9], v[0:1]
	v_cvt_u32_f64_e32 v0, v[0:1]
	global_store_byte v[4:5], v0, off
.LBB9_847:
	s_mov_b64 s[8:9], -1
.LBB9_848:
	s_andn2_b64 vcc, exec, s[8:9]
	s_cbranch_vccnz .LBB9_850
; %bb.849:
	v_add_u32_e32 v11, 0x80, v11
	s_mov_b64 s[8:9], -1
	s_branch .LBB9_852
.LBB9_850:
	s_mov_b64 s[8:9], 0
.LBB9_851:
                                        ; implicit-def: $vgpr11
.LBB9_852:
	s_andn2_b64 s[10:11], s[60:61], exec
	s_and_b64 s[0:1], s[0:1], exec
	s_or_b64 s[68:69], s[10:11], s[0:1]
	s_andn2_b64 s[0:1], s[58:59], exec
	s_and_b64 s[2:3], s[2:3], exec
	s_or_b64 s[66:67], s[0:1], s[2:3]
	s_orn2_b64 s[2:3], s[8:9], exec
.LBB9_853:
	s_or_b64 exec, exec, s[64:65]
	s_mov_b64 s[0:1], 0
	s_mov_b64 s[8:9], 0
	s_mov_b64 s[10:11], 0
                                        ; implicit-def: $vgpr0_vgpr1
                                        ; implicit-def: $vgpr2
                                        ; implicit-def: $vgpr3_vgpr4
	s_and_saveexec_b64 s[64:65], s[2:3]
	s_cbranch_execz .LBB9_952
; %bb.854:
	v_cmp_gt_i32_e32 vcc, s70, v11
	s_mov_b64 s[2:3], 0
	s_mov_b64 s[12:13], s[66:67]
                                        ; implicit-def: $vgpr0_vgpr1
                                        ; implicit-def: $vgpr2
                                        ; implicit-def: $vgpr3_vgpr4
	s_and_saveexec_b64 s[70:71], vcc
	s_cbranch_execz .LBB9_951
; %bb.855:
	s_andn2_b64 vcc, exec, s[40:41]
	s_cbranch_vccnz .LBB9_860
; %bb.856:
	s_andn2_b64 vcc, exec, s[50:51]
	s_cbranch_vccnz .LBB9_861
; %bb.857:
	s_add_i32 s76, s75, 1
	s_cmp_eq_u32 s72, 2
	s_cbranch_scc1 .LBB9_862
; %bb.858:
	s_and_b32 s75, s76, 28
	v_mov_b32_e32 v0, 0
	s_mov_b32 s77, 0
	s_mov_b64 s[50:51], s[34:35]
	v_mov_b32_e32 v2, 0
	v_mov_b32_e32 v1, v11
.LBB9_859:                              ; =>This Inner Loop Header: Depth=1
	s_load_dwordx8 s[16:23], s[50:51], 0x4
	s_load_dwordx4 s[0:3], s[50:51], 0x24
	s_load_dwordx8 s[8:15], s[48:49], 0x0
	s_add_u32 s50, s50, 48
	s_addc_u32 s51, s51, 0
	s_waitcnt vmcnt(0) lgkmcnt(0)
	v_mul_hi_u32 v3, s17, v1
	s_add_i32 s77, s77, 4
	s_add_u32 s48, s48, 32
	s_addc_u32 s49, s49, 0
	v_add_u32_e32 v3, v1, v3
	v_lshrrev_b32_e32 v3, s18, v3
	v_mul_lo_u32 v4, v3, s16
	v_mul_hi_u32 v5, s20, v3
	s_cmp_eq_u32 s75, s77
	v_sub_u32_e32 v1, v1, v4
	v_add_u32_e32 v4, v3, v5
	v_mul_lo_u32 v5, v1, s8
	v_mul_lo_u32 v6, v1, s9
	v_lshrrev_b32_e32 v1, s21, v4
	v_mul_lo_u32 v4, v1, s19
	v_mul_hi_u32 v7, s23, v1
	v_sub_u32_e32 v3, v3, v4
	v_add_u32_e32 v4, v1, v7
	v_lshrrev_b32_e32 v4, s0, v4
	v_mul_hi_u32 v8, s2, v4
	v_mul_lo_u32 v9, v4, s22
	v_mul_lo_u32 v7, v3, s10
	;; [unrolled: 1-line block ×3, first 2 shown]
	v_sub_u32_e32 v9, v1, v9
	v_add_u32_e32 v1, v4, v8
	v_lshrrev_b32_e32 v1, s3, v1
	v_mul_lo_u32 v8, v1, s1
	v_mul_lo_u32 v10, v9, s12
	;; [unrolled: 1-line block ×3, first 2 shown]
	v_add3_u32 v2, v5, v2, v7
	v_sub_u32_e32 v4, v4, v8
	v_mul_lo_u32 v8, v4, s14
	v_mul_lo_u32 v4, v4, s15
	v_add3_u32 v0, v6, v0, v3
	v_add3_u32 v2, v10, v2, v8
	;; [unrolled: 1-line block ×3, first 2 shown]
	s_cbranch_scc0 .LBB9_859
	s_branch .LBB9_863
.LBB9_860:
	s_mov_b64 s[0:1], -1
                                        ; implicit-def: $vgpr2
                                        ; implicit-def: $vgpr0
	s_branch .LBB9_867
.LBB9_861:
	v_mov_b32_e32 v2, 0
	v_mov_b32_e32 v0, 0
	s_branch .LBB9_866
.LBB9_862:
	s_mov_b32 s75, 0
	v_mov_b32_e32 v2, 0
	v_mov_b32_e32 v0, 0
	;; [unrolled: 1-line block ×3, first 2 shown]
.LBB9_863:
	s_and_b32 s8, s76, 3
	s_cmp_eq_u32 s8, 0
	s_cbranch_scc1 .LBB9_866
; %bb.864:
	s_lshl_b32 s0, s75, 3
	s_add_u32 s0, s34, s0
	s_addc_u32 s1, s35, 0
	s_add_u32 s0, s0, 0xc4
	s_addc_u32 s1, s1, 0
	s_mul_i32 s2, s75, 12
	s_add_u32 s2, s34, s2
	s_addc_u32 s3, s35, 0
.LBB9_865:                              ; =>This Inner Loop Header: Depth=1
	s_load_dwordx2 s[10:11], s[2:3], 0x4
	s_load_dword s9, s[2:3], 0xc
	s_load_dwordx2 s[12:13], s[0:1], 0x0
	s_add_u32 s2, s2, 12
	s_addc_u32 s3, s3, 0
	s_waitcnt vmcnt(0) lgkmcnt(0)
	v_mul_hi_u32 v3, s11, v1
	s_add_u32 s0, s0, 8
	s_addc_u32 s1, s1, 0
	s_add_i32 s8, s8, -1
	v_add_u32_e32 v3, v1, v3
	v_lshrrev_b32_e32 v4, s9, v3
	v_mul_lo_u32 v3, v4, s10
	s_cmp_lg_u32 s8, 0
	v_sub_u32_e32 v1, v1, v3
	v_mad_u64_u32 v[2:3], s[10:11], v1, s12, v[2:3]
	v_mad_u64_u32 v[0:1], s[10:11], v1, s13, v[0:1]
	v_mov_b32_e32 v1, v4
	s_cbranch_scc1 .LBB9_865
.LBB9_866:
	s_mov_b64 s[0:1], 0
.LBB9_867:
	s_andn2_b64 vcc, exec, s[0:1]
	s_cbranch_vccnz .LBB9_870
; %bb.868:
	s_waitcnt lgkmcnt(0)
	v_mul_hi_u32 v0, s37, v11
	s_andn2_b64 vcc, exec, s[46:47]
	v_add_u32_e32 v0, v11, v0
	v_lshrrev_b32_e32 v1, s38, v0
	v_mul_lo_u32 v0, v1, s36
	v_sub_u32_e32 v0, v11, v0
	v_mul_lo_u32 v2, v0, s28
	v_mul_lo_u32 v0, v0, s29
	s_cbranch_vccnz .LBB9_870
; %bb.869:
	s_waitcnt vmcnt(0)
	v_mul_hi_u32 v3, s44, v1
	v_add_u32_e32 v3, v1, v3
	v_lshrrev_b32_e32 v3, s45, v3
	v_mul_lo_u32 v3, v3, s39
	v_sub_u32_e32 v1, v1, v3
	v_mad_u64_u32 v[2:3], s[0:1], v1, s30, v[2:3]
	v_mad_u64_u32 v[0:1], s[0:1], v1, s31, v[0:1]
.LBB9_870:
	s_waitcnt lgkmcnt(0)
	v_mov_b32_e32 v1, s27
	s_and_b32 s14, 0xffff, s74
	v_add_co_u32_e32 v0, vcc, s26, v0
	s_cmp_lt_i32 s14, 11
	v_addc_co_u32_e32 v1, vcc, 0, v1, vcc
	s_cbranch_scc1 .LBB9_877
; %bb.871:
	s_cmp_gt_i32 s14, 25
	s_mov_b64 s[2:3], 0
	s_cbranch_scc0 .LBB9_878
; %bb.872:
	s_cmp_gt_i32 s14, 28
	s_cbranch_scc0 .LBB9_879
; %bb.873:
	s_cmp_gt_i32 s14, 43
	;; [unrolled: 3-line block ×3, first 2 shown]
	s_cbranch_scc0 .LBB9_883
; %bb.875:
	s_cmp_eq_u32 s14, 46
	s_mov_b64 s[10:11], 0
	s_cbranch_scc0 .LBB9_886
; %bb.876:
	global_load_dword v3, v[0:1], off
	s_mov_b64 s[0:1], 0
	s_mov_b64 s[8:9], -1
	s_waitcnt vmcnt(0)
	v_lshlrev_b32_e32 v3, 16, v3
	v_cvt_f64_f32_e32 v[3:4], v3
	s_branch .LBB9_887
.LBB9_877:
	s_mov_b64 s[12:13], -1
	s_mov_b64 s[8:9], 0
	s_mov_b64 s[2:3], 0
	;; [unrolled: 1-line block ×3, first 2 shown]
                                        ; implicit-def: $vgpr3_vgpr4
	s_branch .LBB9_950
.LBB9_878:
	s_mov_b64 s[10:11], -1
	s_mov_b64 s[8:9], 0
	s_mov_b64 s[0:1], s[66:67]
                                        ; implicit-def: $vgpr3_vgpr4
	s_branch .LBB9_918
.LBB9_879:
	s_mov_b64 s[10:11], -1
	s_mov_b64 s[8:9], 0
	s_mov_b64 s[0:1], s[66:67]
                                        ; implicit-def: $vgpr3_vgpr4
	s_branch .LBB9_897
.LBB9_880:
	s_mov_b64 s[10:11], -1
	s_mov_b64 s[8:9], 0
	s_mov_b64 s[0:1], s[66:67]
                                        ; implicit-def: $vgpr3_vgpr4
	s_branch .LBB9_892
.LBB9_881:
	s_andn2_saveexec_b64 s[12:13], s[12:13]
	s_cbranch_execz .LBB9_761
.LBB9_882:
	s_mov_b32 s16, 0x46000000
	v_add_f32_e64 v3, |v2|, s16
	v_and_b32_e32 v3, 0xff, v3
	v_cmp_ne_u32_e32 vcc, 0, v3
	s_andn2_b64 s[10:11], s[10:11], exec
	s_and_b64 s[16:17], vcc, exec
	s_or_b64 s[10:11], s[10:11], s[16:17]
	s_or_b64 exec, exec, s[12:13]
	v_mov_b32_e32 v6, 0
	s_and_saveexec_b64 s[12:13], s[10:11]
	s_cbranch_execnz .LBB9_762
	s_branch .LBB9_763
.LBB9_883:
	s_mov_b64 s[10:11], -1
	s_mov_b64 s[8:9], 0
	s_mov_b64 s[0:1], s[66:67]
                                        ; implicit-def: $vgpr3_vgpr4
	s_branch .LBB9_887
.LBB9_884:
	s_andn2_saveexec_b64 s[12:13], s[12:13]
	s_cbranch_execz .LBB9_774
.LBB9_885:
	s_mov_b32 s16, 0x42800000
	v_add_f32_e64 v3, |v2|, s16
	v_and_b32_e32 v3, 0xff, v3
	v_cmp_ne_u32_e32 vcc, 0, v3
	s_andn2_b64 s[10:11], s[10:11], exec
	s_and_b64 s[16:17], vcc, exec
	s_or_b64 s[10:11], s[10:11], s[16:17]
	s_or_b64 exec, exec, s[12:13]
	v_mov_b32_e32 v6, 0
	s_and_saveexec_b64 s[12:13], s[10:11]
	s_cbranch_execnz .LBB9_775
	s_branch .LBB9_776
.LBB9_886:
	s_mov_b64 s[0:1], -1
                                        ; implicit-def: $vgpr3_vgpr4
	s_mov_b64 s[8:9], 0
.LBB9_887:
	s_and_b64 vcc, exec, s[10:11]
	s_cbranch_vccz .LBB9_891
; %bb.888:
	s_cmp_eq_u32 s14, 44
	s_cbranch_scc0 .LBB9_890
; %bb.889:
	global_load_ubyte v5, v[0:1], off
	s_movk_i32 s8, 0xff
	v_bfrev_b32_e32 v6, 4
	v_mov_b32_e32 v7, 0x7ff80000
	v_bfrev_b32_e32 v8, 28
	s_mov_b64 s[0:1], 0
	s_waitcnt vmcnt(0)
	v_lshlrev_b32_e32 v3, 23, v5
	v_cvt_f64_f32_e32 v[3:4], v3
	v_cmp_ne_u32_e32 vcc, s8, v5
	s_mov_b64 s[8:9], -1
	v_cndmask_b32_e32 v3, v6, v3, vcc
	v_cndmask_b32_e32 v4, v7, v4, vcc
	v_cmp_ne_u32_e32 vcc, 0, v5
	v_cndmask_b32_e32 v4, v8, v4, vcc
	v_cndmask_b32_e32 v3, 0, v3, vcc
	s_branch .LBB9_891
.LBB9_890:
	s_mov_b64 s[0:1], -1
                                        ; implicit-def: $vgpr3_vgpr4
.LBB9_891:
	s_mov_b64 s[10:11], 0
.LBB9_892:
	s_and_b64 vcc, exec, s[10:11]
	s_cbranch_vccz .LBB9_896
; %bb.893:
	s_cmp_eq_u32 s14, 29
	s_cbranch_scc0 .LBB9_895
; %bb.894:
	global_load_dwordx2 v[3:4], v[0:1], off
	s_mov_b64 s[0:1], 0
	s_mov_b64 s[8:9], -1
	s_mov_b64 s[10:11], 0
	s_waitcnt vmcnt(0)
	v_cvt_f64_u32_e32 v[4:5], v4
	v_cvt_f64_u32_e32 v[6:7], v3
	v_ldexp_f64 v[4:5], v[4:5], 32
	v_add_f64 v[3:4], v[4:5], v[6:7]
	s_branch .LBB9_897
.LBB9_895:
	s_mov_b64 s[0:1], -1
                                        ; implicit-def: $vgpr3_vgpr4
.LBB9_896:
	s_mov_b64 s[10:11], 0
.LBB9_897:
	s_and_b64 vcc, exec, s[10:11]
	s_cbranch_vccz .LBB9_917
; %bb.898:
	s_cmp_lt_i32 s14, 27
	s_cbranch_scc1 .LBB9_901
; %bb.899:
	s_cmp_gt_i32 s14, 27
	s_cbranch_scc0 .LBB9_902
; %bb.900:
	global_load_dword v3, v[0:1], off
	s_mov_b64 s[8:9], 0
	s_waitcnt vmcnt(0)
	v_cvt_f64_u32_e32 v[3:4], v3
	s_branch .LBB9_903
.LBB9_901:
	s_mov_b64 s[8:9], -1
                                        ; implicit-def: $vgpr3_vgpr4
	s_branch .LBB9_906
.LBB9_902:
	s_mov_b64 s[8:9], -1
                                        ; implicit-def: $vgpr3_vgpr4
.LBB9_903:
	s_andn2_b64 vcc, exec, s[8:9]
	s_cbranch_vccnz .LBB9_905
; %bb.904:
	global_load_ushort v3, v[0:1], off
	s_waitcnt vmcnt(0)
	v_cvt_f64_u32_e32 v[3:4], v3
.LBB9_905:
	s_mov_b64 s[8:9], 0
.LBB9_906:
	s_andn2_b64 vcc, exec, s[8:9]
	s_cbranch_vccnz .LBB9_916
; %bb.907:
	global_load_ubyte v5, v[0:1], off
	s_movk_i32 s8, 0x7f
	s_waitcnt vmcnt(0)
	v_cmp_lt_i16_e32 vcc, s8, v5
	s_mov_b64 s[8:9], 0
	s_and_saveexec_b64 s[10:11], vcc
	s_xor_b64 s[10:11], exec, s[10:11]
	s_cbranch_execz .LBB9_911
; %bb.908:
	s_movk_i32 s8, 0x80
	v_cmp_eq_u16_e32 vcc, s8, v5
	s_mov_b64 s[8:9], -1
	s_and_saveexec_b64 s[12:13], vcc
; %bb.909:
	s_xor_b64 s[8:9], exec, -1
; %bb.910:
	s_or_b64 exec, exec, s[12:13]
	s_and_b64 s[8:9], s[8:9], exec
.LBB9_911:
	s_or_saveexec_b64 s[10:11], s[10:11]
	v_bfrev_b32_e32 v3, 4
	v_mov_b32_e32 v4, 0x7ff80000
	s_xor_b64 exec, exec, s[10:11]
; %bb.912:
	v_cmp_ne_u16_e32 vcc, 0, v5
	v_mov_b32_e32 v3, 0
	s_andn2_b64 s[8:9], s[8:9], exec
	s_and_b64 s[12:13], vcc, exec
	v_mov_b32_e32 v4, 0
	s_or_b64 s[8:9], s[8:9], s[12:13]
; %bb.913:
	s_or_b64 exec, exec, s[10:11]
	s_and_saveexec_b64 s[10:11], s[8:9]
	s_cbranch_execz .LBB9_915
; %bb.914:
	v_and_b32_e32 v4, 0xffff, v5
	v_lshlrev_b32_e32 v3, 24, v5
	v_and_b32_e32 v5, 7, v4
	v_ffbh_u32_e32 v7, v5
	v_min_u32_e32 v7, 32, v7
	v_subrev_u32_e32 v8, 28, v7
	v_bfe_u32 v6, v4, 3, 4
	v_lshlrev_b32_e32 v4, v8, v4
	v_sub_u32_e32 v7, 29, v7
	v_and_b32_e32 v4, 7, v4
	v_cmp_eq_u32_e32 vcc, 0, v6
	v_cndmask_b32_e32 v6, v6, v7, vcc
	v_cndmask_b32_e32 v4, v5, v4, vcc
	v_mov_b32_e32 v5, 0x3b800000
	v_lshlrev_b32_e32 v4, 20, v4
	v_and_b32_e32 v3, 0x80000000, v3
	v_lshl_add_u32 v5, v6, 23, v5
	v_or3_b32 v3, v3, v5, v4
	v_cvt_f64_f32_e32 v[3:4], v3
.LBB9_915:
	s_or_b64 exec, exec, s[10:11]
.LBB9_916:
	s_mov_b64 s[8:9], -1
.LBB9_917:
	s_mov_b64 s[10:11], 0
.LBB9_918:
	s_and_b64 vcc, exec, s[10:11]
	s_cbranch_vccz .LBB9_949
; %bb.919:
	s_cmp_gt_i32 s14, 22
	s_cbranch_scc0 .LBB9_931
; %bb.920:
	s_cmp_lt_i32 s14, 24
	s_cbranch_scc1 .LBB9_932
; %bb.921:
	s_cmp_gt_i32 s14, 24
	s_cbranch_scc0 .LBB9_933
; %bb.922:
	global_load_ubyte v5, v[0:1], off
	s_movk_i32 s2, 0x7f
	s_waitcnt vmcnt(0)
	v_cmp_lt_i16_e32 vcc, s2, v5
	s_mov_b64 s[2:3], 0
	s_and_saveexec_b64 s[8:9], vcc
	s_xor_b64 s[8:9], exec, s[8:9]
	s_cbranch_execz .LBB9_926
; %bb.923:
	s_movk_i32 s2, 0x80
	v_cmp_eq_u16_e32 vcc, s2, v5
	s_mov_b64 s[2:3], -1
	s_and_saveexec_b64 s[10:11], vcc
; %bb.924:
	s_xor_b64 s[2:3], exec, -1
; %bb.925:
	s_or_b64 exec, exec, s[10:11]
	s_and_b64 s[2:3], s[2:3], exec
.LBB9_926:
	s_or_saveexec_b64 s[8:9], s[8:9]
	v_bfrev_b32_e32 v3, 4
	v_mov_b32_e32 v4, 0x7ff80000
	s_xor_b64 exec, exec, s[8:9]
; %bb.927:
	v_cmp_ne_u16_e32 vcc, 0, v5
	v_mov_b32_e32 v3, 0
	s_andn2_b64 s[2:3], s[2:3], exec
	s_and_b64 s[10:11], vcc, exec
	v_mov_b32_e32 v4, 0
	s_or_b64 s[2:3], s[2:3], s[10:11]
; %bb.928:
	s_or_b64 exec, exec, s[8:9]
	s_and_saveexec_b64 s[8:9], s[2:3]
	s_cbranch_execz .LBB9_930
; %bb.929:
	v_and_b32_e32 v4, 0xffff, v5
	v_lshlrev_b32_e32 v3, 24, v5
	v_and_b32_e32 v5, 3, v4
	v_ffbh_u32_e32 v7, v5
	v_min_u32_e32 v7, 32, v7
	v_subrev_u32_e32 v8, 29, v7
	v_bfe_u32 v6, v4, 2, 5
	v_lshlrev_b32_e32 v4, v8, v4
	v_sub_u32_e32 v7, 30, v7
	v_and_b32_e32 v4, 3, v4
	v_cmp_eq_u32_e32 vcc, 0, v6
	v_cndmask_b32_e32 v6, v6, v7, vcc
	v_cndmask_b32_e32 v4, v5, v4, vcc
	v_mov_b32_e32 v5, 0x37800000
	v_lshlrev_b32_e32 v4, 21, v4
	v_and_b32_e32 v3, 0x80000000, v3
	v_lshl_add_u32 v5, v6, 23, v5
	v_or3_b32 v3, v3, v5, v4
	v_cvt_f64_f32_e32 v[3:4], v3
.LBB9_930:
	s_or_b64 exec, exec, s[8:9]
	s_mov_b64 s[2:3], 0
	s_branch .LBB9_934
.LBB9_931:
	s_mov_b64 s[2:3], -1
                                        ; implicit-def: $vgpr3_vgpr4
	s_branch .LBB9_940
.LBB9_932:
	s_mov_b64 s[2:3], -1
                                        ; implicit-def: $vgpr3_vgpr4
	s_branch .LBB9_937
.LBB9_933:
	s_mov_b64 s[2:3], -1
                                        ; implicit-def: $vgpr3_vgpr4
.LBB9_934:
	s_and_b64 vcc, exec, s[2:3]
	s_cbranch_vccz .LBB9_936
; %bb.935:
	global_load_ubyte v3, v[0:1], off
	s_mov_b32 s2, 0x7f800000
	s_waitcnt vmcnt(0)
	v_lshlrev_b32_e32 v3, 24, v3
	v_and_b32_e32 v4, 0x7f000000, v3
	v_ffbh_u32_e32 v5, v4
	v_min_u32_e32 v5, 32, v5
	v_sub_u32_e64 v5, v5, 4 clamp
	v_lshlrev_b32_e32 v7, v5, v4
	v_lshlrev_b32_e32 v5, 23, v5
	v_lshrrev_b32_e32 v7, 4, v7
	v_add_u32_e32 v6, 0x1000000, v4
	v_sub_u32_e32 v5, v7, v5
	v_ashrrev_i32_e32 v6, 8, v6
	v_add_u32_e32 v5, 0x3c000000, v5
	v_and_or_b32 v5, v6, s2, v5
	v_cmp_ne_u32_e32 vcc, 0, v4
	v_cndmask_b32_e32 v4, 0, v5, vcc
	s_brev_b32 s2, 1
	v_and_or_b32 v3, v3, s2, v4
	v_cvt_f64_f32_e32 v[3:4], v3
.LBB9_936:
	s_mov_b64 s[2:3], 0
.LBB9_937:
	s_andn2_b64 vcc, exec, s[2:3]
	s_cbranch_vccnz .LBB9_939
; %bb.938:
	global_load_ubyte v3, v[0:1], off
	s_movk_i32 s2, 0x7f00
	s_brev_b32 s3, 16
	s_waitcnt vmcnt(0)
	v_lshlrev_b16_e32 v4, 8, v3
	v_lshlrev_b32_e32 v3, 25, v3
	v_lshrrev_b32_e32 v5, 4, v3
	v_and_or_b32 v6, v4, s2, 0.5
	v_or_b32_e32 v5, 0x70000000, v5
	v_add_f32_e32 v6, -0.5, v6
	v_mul_f32_e32 v5, 0x7800000, v5
	v_cmp_gt_u32_e32 vcc, s3, v3
	v_bfe_i32 v4, v4, 0, 16
	v_cndmask_b32_e32 v3, v5, v6, vcc
	s_brev_b32 s2, 1
	v_and_or_b32 v3, v4, s2, v3
	v_cvt_f64_f32_e32 v[3:4], v3
.LBB9_939:
	s_mov_b64 s[2:3], 0
	s_mov_b64 s[8:9], -1
.LBB9_940:
	s_andn2_b64 vcc, exec, s[2:3]
	s_mov_b64 s[2:3], 0
	s_cbranch_vccnz .LBB9_949
; %bb.941:
	s_cmp_gt_i32 s14, 14
	s_cbranch_scc0 .LBB9_944
; %bb.942:
	s_cmp_eq_u32 s14, 15
	s_cbranch_scc0 .LBB9_945
; %bb.943:
	global_load_ushort v3, v[0:1], off
	s_mov_b64 s[0:1], 0
	s_mov_b64 s[8:9], -1
	s_waitcnt vmcnt(0)
	v_lshlrev_b32_e32 v3, 16, v3
	v_cvt_f64_f32_e32 v[3:4], v3
	s_branch .LBB9_946
.LBB9_944:
	s_mov_b64 s[10:11], -1
                                        ; implicit-def: $vgpr3_vgpr4
	s_branch .LBB9_947
.LBB9_945:
	s_mov_b64 s[0:1], -1
                                        ; implicit-def: $vgpr3_vgpr4
.LBB9_946:
	s_mov_b64 s[10:11], 0
.LBB9_947:
	s_and_b64 vcc, exec, s[10:11]
	s_cbranch_vccz .LBB9_949
; %bb.948:
	s_cmp_lg_u32 s14, 11
	s_cselect_b64 s[10:11], -1, 0
	s_andn2_b64 s[0:1], s[0:1], exec
	s_and_b64 s[10:11], s[10:11], exec
	s_mov_b64 s[2:3], -1
	s_or_b64 s[0:1], s[0:1], s[10:11]
.LBB9_949:
	s_mov_b64 s[12:13], 0
.LBB9_950:
	s_and_b64 s[10:11], s[8:9], exec
	s_and_b64 s[8:9], s[12:13], exec
	s_andn2_b64 s[12:13], s[66:67], exec
	s_and_b64 s[0:1], s[0:1], exec
	s_and_b64 s[2:3], s[2:3], exec
	s_or_b64 s[12:13], s[12:13], s[0:1]
.LBB9_951:
	s_or_b64 exec, exec, s[70:71]
	s_and_b64 s[0:1], s[2:3], exec
	s_andn2_b64 s[2:3], s[66:67], exec
	s_and_b64 s[12:13], s[12:13], exec
	s_and_b64 s[10:11], s[10:11], exec
	;; [unrolled: 1-line block ×3, first 2 shown]
	s_or_b64 s[66:67], s[2:3], s[12:13]
.LBB9_952:
	s_or_b64 exec, exec, s[64:65]
	s_andn2_b64 s[2:3], s[60:61], exec
	s_and_b64 s[12:13], s[68:69], exec
	s_or_b64 s[60:61], s[2:3], s[12:13]
	s_and_b64 s[2:3], s[0:1], exec
	s_andn2_b64 s[0:1], s[58:59], exec
	s_and_b64 s[12:13], s[66:67], exec
	s_and_b64 s[10:11], s[10:11], exec
	;; [unrolled: 1-line block ×3, first 2 shown]
	s_or_b64 s[58:59], s[0:1], s[12:13]
.LBB9_953:
	s_or_b64 exec, exec, s[62:63]
	s_andn2_b64 s[0:1], s[52:53], exec
	s_and_b64 s[12:13], s[60:61], exec
	s_or_b64 s[52:53], s[0:1], s[12:13]
	s_and_b64 s[0:1], s[10:11], exec
	s_and_b64 s[10:11], s[8:9], exec
	;; [unrolled: 1-line block ×3, first 2 shown]
	s_andn2_b64 s[2:3], s[54:55], exec
	s_and_b64 s[8:9], s[58:59], exec
	s_or_b64 s[54:55], s[2:3], s[8:9]
	s_or_b64 exec, exec, s[56:57]
	s_mov_b64 s[2:3], 0
	s_and_saveexec_b64 s[8:9], s[54:55]
	s_cbranch_execz .LBB9_286
.LBB9_954:
	s_mov_b64 s[2:3], exec
	s_andn2_b64 s[60:61], s[60:61], exec
	s_trap 2
	s_or_b64 exec, exec, s[8:9]
	s_and_saveexec_b64 s[8:9], s[60:61]
	s_xor_b64 s[8:9], exec, s[8:9]
	s_cbranch_execnz .LBB9_287
.LBB9_955:
	s_or_b64 exec, exec, s[8:9]
	s_and_saveexec_b64 s[8:9], s[10:11]
	s_cbranch_execz .LBB9_1001
.LBB9_956:
	s_sext_i32_i16 s10, s74
	s_cmp_lt_i32 s10, 5
	s_cbranch_scc1 .LBB9_961
; %bb.957:
	s_cmp_lt_i32 s10, 8
	s_cbranch_scc1 .LBB9_962
; %bb.958:
	;; [unrolled: 3-line block ×3, first 2 shown]
	s_cmp_gt_i32 s10, 9
	s_cbranch_scc0 .LBB9_964
; %bb.960:
	global_load_dwordx2 v[3:4], v[0:1], off
	s_mov_b64 s[10:11], 0
	s_branch .LBB9_965
.LBB9_961:
                                        ; implicit-def: $vgpr3_vgpr4
	s_branch .LBB9_982
.LBB9_962:
                                        ; implicit-def: $vgpr3_vgpr4
	s_branch .LBB9_971
.LBB9_963:
	s_mov_b64 s[10:11], -1
                                        ; implicit-def: $vgpr3_vgpr4
	s_branch .LBB9_968
.LBB9_964:
	s_mov_b64 s[10:11], -1
                                        ; implicit-def: $vgpr3_vgpr4
.LBB9_965:
	s_andn2_b64 vcc, exec, s[10:11]
	s_cbranch_vccnz .LBB9_967
; %bb.966:
	global_load_dword v3, v[0:1], off
	s_waitcnt vmcnt(0)
	v_cvt_f64_f32_e32 v[3:4], v3
.LBB9_967:
	s_mov_b64 s[10:11], 0
.LBB9_968:
	s_andn2_b64 vcc, exec, s[10:11]
	s_cbranch_vccnz .LBB9_970
; %bb.969:
	global_load_dword v3, v[0:1], off
	s_waitcnt vmcnt(0)
	v_cvt_f32_f16_e32 v3, v3
	v_cvt_f64_f32_e32 v[3:4], v3
.LBB9_970:
	s_cbranch_execnz .LBB9_981
.LBB9_971:
	s_sext_i32_i16 s10, s74
	s_cmp_lt_i32 s10, 6
	s_cbranch_scc1 .LBB9_974
; %bb.972:
	s_cmp_gt_i32 s10, 6
	s_cbranch_scc0 .LBB9_975
; %bb.973:
	global_load_dwordx2 v[3:4], v[0:1], off
	s_mov_b64 s[10:11], 0
	s_branch .LBB9_976
.LBB9_974:
	s_mov_b64 s[10:11], -1
                                        ; implicit-def: $vgpr3_vgpr4
	s_branch .LBB9_979
.LBB9_975:
	s_mov_b64 s[10:11], -1
                                        ; implicit-def: $vgpr3_vgpr4
.LBB9_976:
	s_andn2_b64 vcc, exec, s[10:11]
	s_cbranch_vccnz .LBB9_978
; %bb.977:
	global_load_dword v3, v[0:1], off
	s_waitcnt vmcnt(0)
	v_cvt_f64_f32_e32 v[3:4], v3
.LBB9_978:
	s_mov_b64 s[10:11], 0
.LBB9_979:
	s_andn2_b64 vcc, exec, s[10:11]
	s_cbranch_vccnz .LBB9_981
; %bb.980:
	global_load_ushort v3, v[0:1], off
	s_waitcnt vmcnt(0)
	v_cvt_f32_f16_e32 v3, v3
	v_cvt_f64_f32_e32 v[3:4], v3
.LBB9_981:
	s_cbranch_execnz .LBB9_1000
.LBB9_982:
	s_sext_i32_i16 s10, s74
	s_cmp_lt_i32 s10, 2
	s_cbranch_scc1 .LBB9_986
; %bb.983:
	s_cmp_lt_i32 s10, 3
	s_cbranch_scc1 .LBB9_987
; %bb.984:
	s_cmp_gt_i32 s10, 3
	s_cbranch_scc0 .LBB9_988
; %bb.985:
	global_load_dwordx2 v[3:4], v[0:1], off
	s_mov_b64 s[10:11], 0
	s_waitcnt vmcnt(0)
	v_cvt_f64_i32_e32 v[4:5], v4
	v_cvt_f64_u32_e32 v[6:7], v3
	v_ldexp_f64 v[4:5], v[4:5], 32
	v_add_f64 v[3:4], v[4:5], v[6:7]
	s_branch .LBB9_989
.LBB9_986:
                                        ; implicit-def: $vgpr3_vgpr4
	s_branch .LBB9_995
.LBB9_987:
	s_mov_b64 s[10:11], -1
                                        ; implicit-def: $vgpr3_vgpr4
	s_branch .LBB9_992
.LBB9_988:
	s_mov_b64 s[10:11], -1
                                        ; implicit-def: $vgpr3_vgpr4
.LBB9_989:
	s_andn2_b64 vcc, exec, s[10:11]
	s_cbranch_vccnz .LBB9_991
; %bb.990:
	global_load_dword v3, v[0:1], off
	s_waitcnt vmcnt(0)
	v_cvt_f64_i32_e32 v[3:4], v3
.LBB9_991:
	s_mov_b64 s[10:11], 0
.LBB9_992:
	s_andn2_b64 vcc, exec, s[10:11]
	s_cbranch_vccnz .LBB9_994
; %bb.993:
	global_load_sshort v3, v[0:1], off
	s_waitcnt vmcnt(0)
	v_cvt_f64_i32_e32 v[3:4], v3
.LBB9_994:
	s_cbranch_execnz .LBB9_1000
.LBB9_995:
	s_sext_i32_i16 s10, s74
	s_cmp_gt_i32 s10, 0
	s_cbranch_scc0 .LBB9_997
; %bb.996:
	global_load_sbyte v3, v[0:1], off
	s_mov_b64 s[10:11], 0
	s_waitcnt vmcnt(0)
	v_cvt_f64_i32_e32 v[3:4], v3
	s_branch .LBB9_998
.LBB9_997:
	s_mov_b64 s[10:11], -1
                                        ; implicit-def: $vgpr3_vgpr4
.LBB9_998:
	s_andn2_b64 vcc, exec, s[10:11]
	s_cbranch_vccnz .LBB9_1000
; %bb.999:
	global_load_ubyte v0, v[0:1], off
	s_waitcnt vmcnt(0)
	v_cvt_f64_u32_e32 v[3:4], v0
.LBB9_1000:
	s_or_b64 s[0:1], s[0:1], exec
.LBB9_1001:
	s_or_b64 exec, exec, s[8:9]
	s_mov_b64 s[12:13], 0
	s_mov_b64 s[10:11], 0
                                        ; implicit-def: $sgpr18
                                        ; implicit-def: $vgpr5_vgpr6
                                        ; implicit-def: $vgpr0_vgpr1
	s_and_saveexec_b64 s[8:9], s[0:1]
	s_cbranch_execz .LBB9_1021
; %bb.1002:
	s_mov_b32 s0, 0
	s_mov_b32 s1, 0x40200000
	s_waitcnt vmcnt(0)
	v_cmp_le_f64_e64 s[0:1], |v[3:4]|, s[0:1]
                                        ; implicit-def: $vgpr0_vgpr1
	s_and_saveexec_b64 s[10:11], s[0:1]
	s_xor_b64 s[0:1], exec, s[10:11]
	s_cbranch_execz .LBB9_1008
; %bb.1003:
	v_fma_f64 v[0:1], |v[3:4]|, 0.5, -2.0
	v_mov_b32_e32 v5, 0xc38a0576
	v_mov_b32_e32 v6, 0xbc7857d0
	s_mov_b32 s11, 0x3c499f2a
	s_mov_b32 s10, 0xc3c4014
	;; [unrolled: 1-line block ×4, first 2 shown]
	v_mov_b32_e32 v13, 0xfca7ab0c
	v_fma_f64 v[5:6], v[0:1], s[10:11], v[5:6]
	s_mov_b32 s11, 0xbc499f2a
	v_mov_b32_e32 v14, 0x3e928af3
	v_cmp_ngt_f64_e32 vcc, 0, v[3:4]
	v_fma_f64 v[7:8], v[0:1], v[5:6], s[10:11]
	s_mov_b32 s10, 0xe593bfac
	s_mov_b32 s11, 0x3ca663e3
	v_add_f64 v[7:8], v[7:8], s[10:11]
	s_mov_b32 s10, 0x7e0d1573
	s_mov_b32 s11, 0xbcd3eaaa
	v_fma_f64 v[5:6], v[0:1], v[7:8], -v[5:6]
	v_add_f64 v[5:6], v[5:6], s[10:11]
	s_mov_b32 s10, 0x615290c
	s_mov_b32 s11, 0x3d011d7f
	v_fma_f64 v[7:8], v[0:1], v[5:6], -v[7:8]
	;; [unrolled: 4-line block ×20, first 2 shown]
	v_add_f64 v[7:8], v[7:8], s[10:11]
	s_mov_b32 s10, 0x652b82fe
	s_mov_b32 s11, 0x3ff71547
	v_mul_f64 v[9:10], |v[3:4]|, s[10:11]
	s_mov_b32 s10, 0x7913a26a
	s_mov_b32 s11, 0xbf85a29f
	v_fma_f64 v[5:6], v[0:1], v[7:8], -v[5:6]
	v_rndne_f64_e32 v[9:10], v[9:10]
	v_add_f64 v[5:6], v[5:6], s[10:11]
	s_mov_b32 s10, 0xfefa39ef
	s_mov_b32 s11, 0xbfe62e42
	v_fma_f64 v[11:12], v[9:10], s[10:11], |v[3:4]|
	s_mov_b32 s10, 0xe7bb2349
	s_mov_b32 s11, 0x3f9951e3
	v_fma_f64 v[7:8], v[0:1], v[5:6], -v[7:8]
	v_fma_f64 v[11:12], v[9:10], s[12:13], v[11:12]
	s_mov_b32 s12, 0x623fde64
	s_mov_b32 s13, 0x3ec71dee
	v_cvt_i32_f64_e32 v9, v[9:10]
	v_add_f64 v[7:8], v[7:8], s[10:11]
	s_mov_b32 s10, 0x6a5dcb37
	s_mov_b32 s11, 0x3e5ade15
	v_fma_f64 v[13:14], v[11:12], s[10:11], v[13:14]
	s_mov_b32 s10, 0x537c9ebc
	s_mov_b32 s11, 0xbfab1bbc
	v_fma_f64 v[5:6], v[0:1], v[7:8], -v[5:6]
	v_fma_f64 v[13:14], v[11:12], v[13:14], s[12:13]
	s_mov_b32 s12, 0x14761f6e
	s_mov_b32 s13, 0x3f2a01a0
	v_add_f64 v[5:6], v[5:6], s[10:11]
	s_mov_b32 s10, 0x7c89e6b0
	s_mov_b32 s11, 0x3efa0199
	v_fma_f64 v[13:14], v[11:12], v[13:14], s[10:11]
	s_mov_b32 s10, 0xd536f53c
	s_mov_b32 s11, 0x3fba46da
	v_fma_f64 v[7:8], v[0:1], v[5:6], -v[7:8]
	v_fma_f64 v[13:14], v[11:12], v[13:14], s[12:13]
	s_mov_b32 s12, 0x11122322
	s_mov_b32 s13, 0x3f811111
	;; [unrolled: 10-line block ×3, first 2 shown]
	v_add_f64 v[5:6], v[5:6], s[10:11]
	s_mov_b32 s10, 0x555502a1
	s_mov_b32 s11, 0x3fa55555
	v_fma_f64 v[0:1], v[0:1], v[5:6], -v[7:8]
	v_fma_f64 v[5:6], v[11:12], v[13:14], s[10:11]
	s_mov_b32 s10, 0x724a7ffa
	s_mov_b32 s11, 0x3fd02a63
	v_add_f64 v[0:1], v[0:1], s[10:11]
	v_fma_f64 v[5:6], v[11:12], v[5:6], s[12:13]
	s_mov_b32 s10, 11
	s_mov_b32 s11, 0x3fe00000
	v_add_f64 v[0:1], v[0:1], -v[7:8]
	v_fma_f64 v[5:6], v[11:12], v[5:6], s[10:11]
	v_mul_f64 v[0:1], v[0:1], 0.5
	v_fma_f64 v[7:8], v[11:12], v[5:6], 1.0
	v_mul_f64 v[5:6], |v[3:4]|, v[0:1]
	v_fma_f64 v[7:8], v[11:12], v[7:8], 1.0
                                        ; implicit-def: $vgpr0_vgpr1
	s_and_saveexec_b64 s[10:11], vcc
	s_xor_b64 s[10:11], exec, s[10:11]
	s_cbranch_execz .LBB9_1005
; %bb.1004:
	s_mov_b32 s12, 0
	s_mov_b32 s13, 0x40900000
	v_ldexp_f64 v[0:1], v[7:8], v9
	v_cmp_ngt_f64_e64 vcc, |v[3:4]|, s[12:13]
	v_mov_b32_e32 v7, 0x7ff00000
                                        ; implicit-def: $vgpr9
                                        ; implicit-def: $vgpr3_vgpr4
	v_cndmask_b32_e32 v1, v7, v1, vcc
	v_cndmask_b32_e32 v0, 0, v0, vcc
	v_mul_f64 v[0:1], v[0:1], v[5:6]
                                        ; implicit-def: $vgpr7_vgpr8
                                        ; implicit-def: $vgpr5_vgpr6
.LBB9_1005:
	s_andn2_saveexec_b64 s[10:11], s[10:11]
	s_cbranch_execz .LBB9_1007
; %bb.1006:
	s_mov_b32 s12, 0
	s_mov_b32 s13, 0x40900000
	v_ldexp_f64 v[0:1], -v[7:8], v9
	v_cmp_ngt_f64_e64 vcc, |v[3:4]|, s[12:13]
	v_mov_b32_e32 v7, 0xfff00000
	v_cndmask_b32_e32 v1, v7, v1, vcc
	v_cndmask_b32_e32 v0, 0, v0, vcc
	v_mul_f64 v[0:1], v[0:1], v[5:6]
.LBB9_1007:
	s_or_b64 exec, exec, s[10:11]
                                        ; implicit-def: $vgpr3_vgpr4
.LBB9_1008:
	s_andn2_saveexec_b64 s[10:11], s[0:1]
	s_cbranch_execz .LBB9_1014
; %bb.1009:
	s_mov_b32 s0, 0
	v_and_b32_e32 v1, 0x7fffffff, v4
	v_mov_b32_e32 v0, v3
	s_mov_b32 s1, 0x40400000
	v_div_scale_f64 v[5:6], s[12:13], v[0:1], v[0:1], s[0:1]
	v_div_scale_f64 v[0:1], vcc, s[0:1], v[0:1], s[0:1]
	v_mov_b32_e32 v13, 0xfca7ab0c
	v_mov_b32_e32 v14, 0x3e928af3
	v_rcp_f64_e32 v[7:8], v[5:6]
	v_fma_f64 v[9:10], -v[5:6], v[7:8], 1.0
	v_fma_f64 v[7:8], v[7:8], v[9:10], v[7:8]
	v_fma_f64 v[9:10], -v[5:6], v[7:8], 1.0
	v_fma_f64 v[7:8], v[7:8], v[9:10], v[7:8]
	v_mul_f64 v[9:10], v[0:1], v[7:8]
	v_fma_f64 v[0:1], -v[5:6], v[9:10], v[0:1]
	v_mov_b32_e32 v5, 0xea87b950
	v_mov_b32_e32 v6, 0x3c545b8a
	v_div_fmas_f64 v[0:1], v[0:1], v[7:8], v[9:10]
	v_cmp_ngt_f64_e32 vcc, 0, v[3:4]
	v_div_fixup_f64 v[0:1], v[0:1], |v[3:4]|, s[0:1]
	s_mov_b32 s1, 0x3c61556d
	s_mov_b32 s0, 0xb352e8e6
	v_add_f64 v[0:1], v[0:1], -2.0
	v_fma_f64 v[5:6], v[0:1], s[0:1], v[5:6]
	s_mov_b32 s1, 0xbc61556d
	v_fma_f64 v[7:8], v[0:1], v[5:6], s[0:1]
	s_mov_b32 s0, 0xb2532277
	s_mov_b32 s1, 0xbc8acea3
	v_add_f64 v[7:8], v[7:8], s[0:1]
	s_mov_b32 s0, 0x9c773320
	s_mov_b32 s1, 0xbc82806c
	v_fma_f64 v[5:6], v[0:1], v[7:8], -v[5:6]
	v_add_f64 v[5:6], v[5:6], s[0:1]
	s_mov_b32 s0, 0xfceb588a
	s_mov_b32 s1, 0x3cb55915
	v_fma_f64 v[7:8], v[0:1], v[5:6], -v[7:8]
	;; [unrolled: 4-line block ×14, first 2 shown]
	v_add_f64 v[7:8], v[7:8], s[0:1]
	s_mov_b32 s0, 0x652b82fe
	s_mov_b32 s1, 0x3ff71547
	v_mul_f64 v[9:10], |v[3:4]|, s[0:1]
	s_mov_b32 s0, 0x5423dd80
	s_mov_b32 s1, 0xbe0334ca
	v_fma_f64 v[5:6], v[0:1], v[7:8], -v[5:6]
	v_rndne_f64_e32 v[9:10], v[9:10]
	v_add_f64 v[5:6], v[5:6], s[0:1]
	s_mov_b32 s0, 0xfefa39ef
	s_mov_b32 s1, 0xbfe62e42
	v_fma_f64 v[11:12], v[9:10], s[0:1], |v[3:4]|
	s_mov_b32 s0, 0x9ad53528
	s_mov_b32 s1, 0xbe30790b
	v_fma_f64 v[7:8], v[0:1], v[5:6], -v[7:8]
	v_add_f64 v[7:8], v[7:8], s[0:1]
	s_mov_b32 s0, 0x3b39803f
	s_mov_b32 s1, 0xbc7abc9e
	v_fma_f64 v[11:12], v[9:10], s[0:1], v[11:12]
	s_mov_b32 s0, 0x6a5dcb37
	s_mov_b32 s1, 0x3e5ade15
	v_cvt_i32_f64_e32 v9, v[9:10]
	v_fma_f64 v[5:6], v[0:1], v[7:8], -v[5:6]
	v_fma_f64 v[13:14], v[11:12], s[0:1], v[13:14]
	s_mov_b32 s0, 0x94bb46c1
	s_mov_b32 s1, 0xbe5c4153
	v_add_f64 v[5:6], v[5:6], s[0:1]
	s_mov_b32 s0, 0x623fde64
	s_mov_b32 s1, 0x3ec71dee
	v_fma_f64 v[13:14], v[11:12], v[13:14], s[0:1]
	s_mov_b32 s0, 0x7c89e6b0
	s_mov_b32 s1, 0x3efa0199
	v_fma_f64 v[7:8], v[0:1], v[5:6], -v[7:8]
	v_fma_f64 v[13:14], v[11:12], v[13:14], s[0:1]
	s_mov_b32 s0, 0x2e9e5443
	s_mov_b32 s1, 0xbe90dbfd
	v_add_f64 v[7:8], v[7:8], s[0:1]
	s_mov_b32 s0, 0x14761f6e
	s_mov_b32 s1, 0x3f2a01a0
	v_fma_f64 v[13:14], v[11:12], v[13:14], s[0:1]
	s_mov_b32 s0, 0x1852b7b0
	s_mov_b32 s1, 0x3f56c16c
	;; [unrolled: 10-line block ×4, first 2 shown]
	v_fma_f64 v[5:6], v[0:1], v[7:8], -v[5:6]
	v_fma_f64 v[13:14], v[11:12], v[13:14], s[0:1]
	s_mov_b32 s0, 0x53fcdb4c
	s_mov_b32 s1, 0xbf83fda0
	v_add_f64 v[5:6], v[5:6], s[0:1]
	s_mov_b32 s0, 0xb55b1514
	s_mov_b32 s1, 0x3fe8ea18
	v_fma_f64 v[13:14], v[11:12], v[13:14], 1.0
	v_fma_f64 v[0:1], v[0:1], v[5:6], -v[7:8]
	v_fma_f64 v[5:6], v[11:12], v[13:14], 1.0
	v_add_f64 v[0:1], v[0:1], s[0:1]
	s_mov_b32 s0, 0
	s_mov_b32 s1, 0x40900000
	v_ldexp_f64 v[5:6], v[5:6], v9
	v_cmp_ngt_f64_e64 s[0:1], |v[3:4]|, s[0:1]
	v_mov_b32_e32 v9, 0x7ff00000
	v_add_f64 v[7:8], v[0:1], -v[7:8]
                                        ; implicit-def: $vgpr0_vgpr1
	v_cndmask_b32_e64 v6, v9, v6, s[0:1]
	v_cndmask_b32_e64 v5, 0, v5, s[0:1]
	s_and_saveexec_b64 s[0:1], vcc
	s_xor_b64 s[0:1], exec, s[0:1]
	s_cbranch_execz .LBB9_1011
; %bb.1010:
	s_mov_b32 s12, 0
	s_brev_b32 s13, 8
	v_cmp_lt_f64_e64 vcc, |v[3:4]|, s[12:13]
	v_mov_b32_e32 v0, 0x100
	v_mul_f64 v[7:8], v[7:8], 0.5
	v_cndmask_b32_e32 v0, 0, v0, vcc
	v_ldexp_f64 v[0:1], |v[3:4]|, v0
	v_mul_f64 v[5:6], v[5:6], v[7:8]
	v_rsq_f64_e32 v[3:4], v[0:1]
	v_mul_f64 v[9:10], v[0:1], v[3:4]
	v_mul_f64 v[3:4], v[3:4], 0.5
	v_fma_f64 v[11:12], -v[3:4], v[9:10], 0.5
	v_fma_f64 v[9:10], v[9:10], v[11:12], v[9:10]
	v_fma_f64 v[3:4], v[3:4], v[11:12], v[3:4]
	v_fma_f64 v[11:12], -v[9:10], v[9:10], v[0:1]
	v_fma_f64 v[9:10], v[11:12], v[3:4], v[9:10]
	v_fma_f64 v[11:12], -v[9:10], v[9:10], v[0:1]
	v_fma_f64 v[3:4], v[11:12], v[3:4], v[9:10]
	v_mov_b32_e32 v9, 0xffffff80
	v_mov_b32_e32 v10, 0x260
	v_cndmask_b32_e32 v9, 0, v9, vcc
	v_cmp_class_f64_e32 vcc, v[0:1], v10
	v_ldexp_f64 v[3:4], v[3:4], v9
	v_cndmask_b32_e32 v1, v4, v1, vcc
	v_cndmask_b32_e32 v0, v3, v0, vcc
	v_div_scale_f64 v[3:4], s[12:13], v[0:1], v[0:1], v[5:6]
	v_div_scale_f64 v[11:12], vcc, v[5:6], v[0:1], v[5:6]
	v_rcp_f64_e32 v[7:8], v[3:4]
	v_fma_f64 v[9:10], -v[3:4], v[7:8], 1.0
	v_fma_f64 v[7:8], v[7:8], v[9:10], v[7:8]
	v_fma_f64 v[9:10], -v[3:4], v[7:8], 1.0
	v_fma_f64 v[7:8], v[7:8], v[9:10], v[7:8]
	v_mul_f64 v[9:10], v[11:12], v[7:8]
	v_fma_f64 v[3:4], -v[3:4], v[9:10], v[11:12]
	v_div_fmas_f64 v[3:4], v[3:4], v[7:8], v[9:10]
                                        ; implicit-def: $vgpr7_vgpr8
	v_div_fixup_f64 v[0:1], v[3:4], v[0:1], v[5:6]
                                        ; implicit-def: $vgpr3_vgpr4
                                        ; implicit-def: $vgpr5_vgpr6
.LBB9_1011:
	s_andn2_saveexec_b64 s[0:1], s[0:1]
	s_cbranch_execz .LBB9_1013
; %bb.1012:
	s_mov_b32 s12, 0
	s_brev_b32 s13, 8
	v_cmp_lt_f64_e64 vcc, |v[3:4]|, s[12:13]
	v_mov_b32_e32 v0, 0x100
	v_mul_f64 v[7:8], v[7:8], -0.5
	v_cndmask_b32_e32 v0, 0, v0, vcc
	v_ldexp_f64 v[0:1], |v[3:4]|, v0
	v_mul_f64 v[5:6], v[5:6], v[7:8]
	v_rsq_f64_e32 v[3:4], v[0:1]
	v_mul_f64 v[9:10], v[0:1], v[3:4]
	v_mul_f64 v[3:4], v[3:4], 0.5
	v_fma_f64 v[11:12], -v[3:4], v[9:10], 0.5
	v_fma_f64 v[9:10], v[9:10], v[11:12], v[9:10]
	v_fma_f64 v[3:4], v[3:4], v[11:12], v[3:4]
	v_fma_f64 v[11:12], -v[9:10], v[9:10], v[0:1]
	v_fma_f64 v[9:10], v[11:12], v[3:4], v[9:10]
	v_fma_f64 v[11:12], -v[9:10], v[9:10], v[0:1]
	v_fma_f64 v[3:4], v[11:12], v[3:4], v[9:10]
	v_mov_b32_e32 v9, 0xffffff80
	v_mov_b32_e32 v10, 0x260
	v_cndmask_b32_e32 v9, 0, v9, vcc
	v_cmp_class_f64_e32 vcc, v[0:1], v10
	v_ldexp_f64 v[3:4], v[3:4], v9
	v_cndmask_b32_e32 v1, v4, v1, vcc
	v_cndmask_b32_e32 v0, v3, v0, vcc
	v_div_scale_f64 v[3:4], s[12:13], v[0:1], v[0:1], v[5:6]
	v_div_scale_f64 v[11:12], vcc, v[5:6], v[0:1], v[5:6]
	v_rcp_f64_e32 v[7:8], v[3:4]
	v_fma_f64 v[9:10], -v[3:4], v[7:8], 1.0
	v_fma_f64 v[7:8], v[7:8], v[9:10], v[7:8]
	v_fma_f64 v[9:10], -v[3:4], v[7:8], 1.0
	v_fma_f64 v[7:8], v[7:8], v[9:10], v[7:8]
	v_mul_f64 v[9:10], v[11:12], v[7:8]
	v_fma_f64 v[3:4], -v[3:4], v[9:10], v[11:12]
	v_div_fmas_f64 v[3:4], v[3:4], v[7:8], v[9:10]
	v_div_fixup_f64 v[0:1], v[3:4], v[0:1], v[5:6]
.LBB9_1013:
	s_or_b64 exec, exec, s[0:1]
.LBB9_1014:
	s_or_b64 exec, exec, s[10:11]
	s_waitcnt lgkmcnt(0)
	v_mov_b32_e32 v3, s25
	s_and_b32 s18, s73, 0xff
	v_add_co_u32_e32 v5, vcc, s24, v2
	s_cmp_lt_i32 s18, 11
	v_addc_co_u32_e32 v6, vcc, 0, v3, vcc
	s_cbranch_scc1 .LBB9_1024
; %bb.1015:
	s_and_b32 s19, 0xffff, s18
	s_mov_b64 s[12:13], -1
	s_cmp_gt_i32 s19, 25
	s_mov_b64 s[0:1], s[52:53]
	s_cbranch_scc0 .LBB9_1052
; %bb.1016:
	s_mov_b64 s[10:11], -1
	s_cmp_gt_i32 s19, 28
	s_mov_b64 s[0:1], s[52:53]
	s_cbranch_scc0 .LBB9_1036
; %bb.1017:
	s_cmp_gt_i32 s19, 43
	s_mov_b64 s[0:1], s[52:53]
	s_cbranch_scc0 .LBB9_1032
; %bb.1018:
	;; [unrolled: 4-line block ×3, first 2 shown]
	s_cmp_eq_u32 s19, 46
	s_mov_b64 s[0:1], -1
	s_cbranch_scc0 .LBB9_1025
; %bb.1020:
	v_cvt_f32_f64_e32 v2, v[0:1]
	s_movk_i32 s0, 0x7fff
	v_mov_b32_e32 v3, 0x7fc0
	s_mov_b64 s[10:11], 0
	v_bfe_u32 v4, v2, 16, 1
	v_cmp_o_f32_e32 vcc, v2, v2
	v_add3_u32 v2, v2, v4, s0
	v_cndmask_b32_sdwa v2, v3, v2, vcc dst_sel:DWORD dst_unused:UNUSED_PAD src0_sel:DWORD src1_sel:WORD_1
	global_store_dword v[5:6], v2, off
	s_mov_b64 s[0:1], 0
	s_branch .LBB9_1026
.LBB9_1021:
	s_or_b64 exec, exec, s[8:9]
	s_and_saveexec_b64 s[0:1], s[52:53]
	s_cbranch_execnz .LBB9_1094
.LBB9_1022:
	s_or_b64 exec, exec, s[0:1]
	s_and_saveexec_b64 s[0:1], s[12:13]
	s_xor_b64 s[0:1], exec, s[0:1]
	s_cbranch_execz .LBB9_1095
.LBB9_1023:
	v_cmp_neq_f64_e32 vcc, 0, v[0:1]
	v_cndmask_b32_e64 v2, 0, 1, vcc
	global_store_byte v[5:6], v2, off
	s_or_b64 exec, exec, s[0:1]
	s_and_saveexec_b64 s[0:1], s[10:11]
	s_xor_b64 s[0:1], exec, s[0:1]
	s_cbranch_execz .LBB9_1133
	s_branch .LBB9_1096
.LBB9_1024:
	s_mov_b64 s[12:13], 0
	s_mov_b64 s[10:11], -1
	s_mov_b64 s[0:1], s[52:53]
	s_branch .LBB9_1093
.LBB9_1025:
	s_mov_b64 s[10:11], 0
.LBB9_1026:
	s_and_b64 vcc, exec, s[10:11]
	s_cbranch_vccz .LBB9_1031
; %bb.1027:
	s_cmp_eq_u32 s19, 44
	s_mov_b64 s[0:1], -1
	s_cbranch_scc0 .LBB9_1031
; %bb.1028:
	v_cvt_f32_f64_e32 v2, v[0:1]
	s_movk_i32 s0, 0xff
	v_mov_b32_e32 v4, 0xff
	v_bfe_u32 v3, v2, 23, 8
	v_cmp_ne_u32_e32 vcc, s0, v3
	s_and_saveexec_b64 s[10:11], vcc
; %bb.1029:
	s_mov_b32 s0, 0x3fffff
	v_lshrrev_b32_e32 v4, 23, v2
	v_and_b32_e32 v7, 0x400000, v2
	v_and_or_b32 v2, v2, s0, v3
	v_cmp_ne_u32_e32 vcc, 0, v7
	v_cmp_ne_u32_e64 s[0:1], 0, v2
	s_and_b64 s[0:1], vcc, s[0:1]
	v_cndmask_b32_e64 v2, 0, 1, s[0:1]
	v_add_u32_e32 v4, v4, v2
; %bb.1030:
	s_or_b64 exec, exec, s[10:11]
	s_mov_b64 s[0:1], 0
	global_store_byte v[5:6], v4, off
.LBB9_1031:
	s_mov_b64 s[10:11], 0
.LBB9_1032:
	s_and_b64 vcc, exec, s[10:11]
	s_cbranch_vccz .LBB9_1035
; %bb.1033:
	s_cmp_eq_u32 s19, 29
	s_mov_b64 s[0:1], -1
	s_cbranch_scc0 .LBB9_1035
; %bb.1034:
	v_trunc_f64_e32 v[2:3], v[0:1]
	s_movk_i32 s0, 0xffe0
	s_mov_b64 s[10:11], 0
	v_ldexp_f64 v[7:8], v[2:3], s0
	s_mov_b32 s0, 0
	s_mov_b32 s1, 0xc1f00000
	v_floor_f64_e32 v[7:8], v[7:8]
	v_fma_f64 v[2:3], v[7:8], s[0:1], v[2:3]
	v_cvt_u32_f64_e32 v4, v[7:8]
	s_mov_b64 s[0:1], 0
	v_cvt_u32_f64_e32 v3, v[2:3]
	global_store_dwordx2 v[5:6], v[3:4], off
	s_branch .LBB9_1036
.LBB9_1035:
	s_mov_b64 s[10:11], 0
.LBB9_1036:
	s_and_b64 vcc, exec, s[10:11]
	s_cbranch_vccz .LBB9_1051
; %bb.1037:
	s_cmp_lt_i32 s19, 27
	s_mov_b64 s[10:11], -1
	s_cbranch_scc1 .LBB9_1043
; %bb.1038:
	s_cmp_gt_i32 s19, 27
	s_cbranch_scc0 .LBB9_1040
; %bb.1039:
	v_cvt_u32_f64_e32 v2, v[0:1]
	s_mov_b64 s[10:11], 0
	global_store_dword v[5:6], v2, off
.LBB9_1040:
	s_andn2_b64 vcc, exec, s[10:11]
	s_cbranch_vccnz .LBB9_1042
; %bb.1041:
	v_cvt_u32_f64_e32 v2, v[0:1]
	global_store_short v[5:6], v2, off
.LBB9_1042:
	s_mov_b64 s[10:11], 0
.LBB9_1043:
	s_andn2_b64 vcc, exec, s[10:11]
	s_cbranch_vccnz .LBB9_1051
; %bb.1044:
	v_cvt_f32_f64_e32 v2, v[0:1]
	s_mov_b32 s10, 0x43800000
	v_mov_b32_e32 v4, 0x80
	v_and_b32_e32 v3, 0x7fffffff, v2
	v_cmp_gt_u32_e32 vcc, s10, v3
	s_and_saveexec_b64 s[10:11], vcc
	s_cbranch_execz .LBB9_1050
; %bb.1045:
	s_mov_b32 s12, 0x3bffffff
	v_cmp_lt_u32_e32 vcc, s12, v3
	s_mov_b64 s[12:13], 0
                                        ; implicit-def: $vgpr3
	s_and_saveexec_b64 s[14:15], vcc
	s_xor_b64 s[14:15], exec, s[14:15]
	s_cbranch_execz .LBB9_1204
; %bb.1046:
	v_bfe_u32 v3, v2, 20, 1
	s_mov_b32 s16, 0x487ffff
	v_add3_u32 v3, v2, v3, s16
	s_mov_b64 s[12:13], exec
	v_lshrrev_b32_e32 v3, 20, v3
	s_andn2_saveexec_b64 s[14:15], s[14:15]
	s_cbranch_execnz .LBB9_1205
.LBB9_1047:
	s_or_b64 exec, exec, s[14:15]
	v_mov_b32_e32 v4, 0
	s_and_saveexec_b64 s[14:15], s[12:13]
.LBB9_1048:
	v_lshrrev_b32_e32 v2, 24, v2
	s_movk_i32 s12, 0x80
	v_and_or_b32 v4, v2, s12, v3
.LBB9_1049:
	s_or_b64 exec, exec, s[14:15]
.LBB9_1050:
	s_or_b64 exec, exec, s[10:11]
	global_store_byte v[5:6], v4, off
.LBB9_1051:
	s_mov_b64 s[12:13], 0
.LBB9_1052:
	s_mov_b64 s[10:11], 0
	s_and_b64 vcc, exec, s[12:13]
	s_cbranch_vccz .LBB9_1092
; %bb.1053:
	s_cmp_gt_i32 s19, 22
	s_mov_b64 s[12:13], -1
	s_cbranch_scc0 .LBB9_1085
; %bb.1054:
	s_cmp_lt_i32 s19, 24
	s_cbranch_scc1 .LBB9_1074
; %bb.1055:
	s_cmp_gt_i32 s19, 24
	s_cbranch_scc0 .LBB9_1063
; %bb.1056:
	v_cvt_f32_f64_e32 v2, v[0:1]
	s_mov_b32 s12, 0x47800000
	v_mov_b32_e32 v4, 0x80
	v_and_b32_e32 v3, 0x7fffffff, v2
	v_cmp_gt_u32_e32 vcc, s12, v3
	s_and_saveexec_b64 s[12:13], vcc
	s_cbranch_execz .LBB9_1062
; %bb.1057:
	s_mov_b32 s14, 0x37ffffff
	v_cmp_lt_u32_e32 vcc, s14, v3
	s_mov_b64 s[14:15], 0
                                        ; implicit-def: $vgpr3
	s_and_saveexec_b64 s[16:17], vcc
	s_xor_b64 s[16:17], exec, s[16:17]
	s_cbranch_execz .LBB9_1341
; %bb.1058:
	v_bfe_u32 v3, v2, 21, 1
	s_mov_b32 s20, 0x88fffff
	v_add3_u32 v3, v2, v3, s20
	s_mov_b64 s[14:15], exec
	v_lshrrev_b32_e32 v3, 21, v3
	s_andn2_saveexec_b64 s[16:17], s[16:17]
	s_cbranch_execnz .LBB9_1342
.LBB9_1059:
	s_or_b64 exec, exec, s[16:17]
	v_mov_b32_e32 v4, 0
	s_and_saveexec_b64 s[16:17], s[14:15]
.LBB9_1060:
	v_lshrrev_b32_e32 v2, 24, v2
	s_movk_i32 s14, 0x80
	v_and_or_b32 v4, v2, s14, v3
.LBB9_1061:
	s_or_b64 exec, exec, s[16:17]
.LBB9_1062:
	s_or_b64 exec, exec, s[12:13]
	s_mov_b64 s[12:13], 0
	global_store_byte v[5:6], v4, off
.LBB9_1063:
	s_and_b64 vcc, exec, s[12:13]
	s_cbranch_vccz .LBB9_1073
; %bb.1064:
	v_cvt_f32_f64_e32 v2, v[0:1]
	s_mov_b32 s12, 0x43f00000
                                        ; implicit-def: $vgpr3
	v_and_b32_e32 v4, 0x7fffffff, v2
	v_cmp_gt_u32_e32 vcc, s12, v4
	s_and_saveexec_b64 s[12:13], vcc
	s_xor_b64 s[12:13], exec, s[12:13]
	s_cbranch_execz .LBB9_1070
; %bb.1065:
	s_mov_b32 s14, 0x3c7fffff
	v_cmp_lt_u32_e32 vcc, s14, v4
                                        ; implicit-def: $vgpr3
	s_and_saveexec_b64 s[14:15], vcc
	s_xor_b64 s[14:15], exec, s[14:15]
; %bb.1066:
	v_bfe_u32 v3, v2, 20, 1
	s_mov_b32 s16, 0x407ffff
	v_add3_u32 v3, v2, v3, s16
	v_lshrrev_b32_e32 v4, 20, v3
	v_and_b32_e32 v3, 0xff00000, v3
	s_mov_b32 s16, 0x7f00000
	v_mov_b32_e32 v7, 0x7e
	v_cmp_ne_u32_e32 vcc, s16, v3
	v_cndmask_b32_e32 v3, v7, v4, vcc
; %bb.1067:
	s_andn2_saveexec_b64 s[14:15], s[14:15]
; %bb.1068:
	s_mov_b32 s16, 0x46800000
	v_add_f32_e64 v3, |v2|, s16
; %bb.1069:
	s_or_b64 exec, exec, s[14:15]
                                        ; implicit-def: $vgpr4
.LBB9_1070:
	s_andn2_saveexec_b64 s[12:13], s[12:13]
; %bb.1071:
	s_mov_b32 s14, 0x7f800000
	v_mov_b32_e32 v3, 0x7e
	v_mov_b32_e32 v7, 0x7f
	v_cmp_lt_u32_e32 vcc, s14, v4
	v_cndmask_b32_e32 v3, v3, v7, vcc
; %bb.1072:
	s_or_b64 exec, exec, s[12:13]
	v_lshrrev_b32_e32 v2, 24, v2
	s_movk_i32 s12, 0x80
	v_and_or_b32 v2, v2, s12, v3
	global_store_byte v[5:6], v2, off
.LBB9_1073:
	s_mov_b64 s[12:13], 0
.LBB9_1074:
	s_andn2_b64 vcc, exec, s[12:13]
	s_cbranch_vccnz .LBB9_1084
; %bb.1075:
	v_cvt_f32_f64_e32 v2, v[0:1]
	s_mov_b32 s12, 0x47800000
                                        ; implicit-def: $vgpr3
	v_and_b32_e32 v4, 0x7fffffff, v2
	v_cmp_gt_u32_e32 vcc, s12, v4
	s_and_saveexec_b64 s[12:13], vcc
	s_xor_b64 s[12:13], exec, s[12:13]
	s_cbranch_execz .LBB9_1081
; %bb.1076:
	s_mov_b32 s14, 0x387fffff
	v_cmp_lt_u32_e32 vcc, s14, v4
                                        ; implicit-def: $vgpr3
	s_and_saveexec_b64 s[14:15], vcc
	s_xor_b64 s[14:15], exec, s[14:15]
; %bb.1077:
	v_bfe_u32 v3, v2, 21, 1
	s_mov_b32 s16, 0x80fffff
	v_add3_u32 v3, v2, v3, s16
	v_lshrrev_b32_e32 v3, 21, v3
; %bb.1078:
	s_andn2_saveexec_b64 s[14:15], s[14:15]
; %bb.1079:
	s_mov_b32 s16, 0x43000000
	v_add_f32_e64 v3, |v2|, s16
; %bb.1080:
	s_or_b64 exec, exec, s[14:15]
                                        ; implicit-def: $vgpr4
.LBB9_1081:
	s_andn2_saveexec_b64 s[12:13], s[12:13]
; %bb.1082:
	s_mov_b32 s14, 0x7f800000
	v_mov_b32_e32 v3, 0x7c
	v_mov_b32_e32 v7, 0x7f
	v_cmp_lt_u32_e32 vcc, s14, v4
	v_cndmask_b32_e32 v3, v3, v7, vcc
; %bb.1083:
	s_or_b64 exec, exec, s[12:13]
	v_lshrrev_b32_e32 v2, 24, v2
	s_movk_i32 s12, 0x80
	v_and_or_b32 v2, v2, s12, v3
	global_store_byte v[5:6], v2, off
.LBB9_1084:
	s_mov_b64 s[12:13], 0
.LBB9_1085:
	s_andn2_b64 vcc, exec, s[12:13]
	s_mov_b64 s[12:13], 0
	s_cbranch_vccnz .LBB9_1093
; %bb.1086:
	s_cmp_gt_i32 s19, 14
	s_mov_b64 s[14:15], -1
	s_cbranch_scc0 .LBB9_1090
; %bb.1087:
	s_cmp_eq_u32 s19, 15
	s_mov_b64 s[0:1], -1
	s_cbranch_scc0 .LBB9_1089
; %bb.1088:
	v_cvt_f32_f64_e32 v2, v[0:1]
	s_movk_i32 s0, 0x7fff
	v_mov_b32_e32 v3, 0x7fc0
	v_bfe_u32 v4, v2, 16, 1
	v_cmp_o_f32_e32 vcc, v2, v2
	v_add3_u32 v2, v2, v4, s0
	v_cndmask_b32_sdwa v2, v3, v2, vcc dst_sel:DWORD dst_unused:UNUSED_PAD src0_sel:DWORD src1_sel:WORD_1
	global_store_short v[5:6], v2, off
	s_mov_b64 s[0:1], 0
.LBB9_1089:
	s_mov_b64 s[14:15], 0
.LBB9_1090:
	s_and_b64 vcc, exec, s[14:15]
	s_cbranch_vccz .LBB9_1093
; %bb.1091:
	s_cmp_lg_u32 s19, 11
	s_cselect_b64 s[14:15], -1, 0
	s_andn2_b64 s[0:1], s[0:1], exec
	s_and_b64 s[14:15], s[14:15], exec
	s_mov_b64 s[12:13], -1
	s_or_b64 s[0:1], s[0:1], s[14:15]
	s_branch .LBB9_1093
.LBB9_1092:
	s_mov_b64 s[12:13], 0
.LBB9_1093:
	s_andn2_b64 s[14:15], s[52:53], exec
	s_and_b64 s[0:1], s[0:1], exec
	s_and_b64 s[10:11], s[10:11], exec
	;; [unrolled: 1-line block ×3, first 2 shown]
	s_or_b64 s[52:53], s[14:15], s[0:1]
	s_or_b64 exec, exec, s[8:9]
	s_and_saveexec_b64 s[0:1], s[52:53]
	s_cbranch_execz .LBB9_1022
.LBB9_1094:
	s_or_b64 s[2:3], s[2:3], exec
	s_andn2_b64 s[12:13], s[12:13], exec
	s_trap 2
	s_or_b64 exec, exec, s[0:1]
	s_and_saveexec_b64 s[0:1], s[12:13]
	s_xor_b64 s[0:1], exec, s[0:1]
	s_cbranch_execnz .LBB9_1023
.LBB9_1095:
	s_or_b64 exec, exec, s[0:1]
	s_and_saveexec_b64 s[0:1], s[10:11]
	s_xor_b64 s[0:1], exec, s[0:1]
	s_cbranch_execz .LBB9_1133
.LBB9_1096:
	s_sext_i32_i16 s10, s18
	s_cmp_lt_i32 s10, 5
	s_mov_b64 s[8:9], -1
	s_cbranch_scc1 .LBB9_1117
; %bb.1097:
	s_cmp_lt_i32 s10, 8
	s_cbranch_scc1 .LBB9_1107
; %bb.1098:
	s_cmp_lt_i32 s10, 9
	s_cbranch_scc1 .LBB9_1104
; %bb.1099:
	s_cmp_gt_i32 s10, 9
	s_cbranch_scc0 .LBB9_1101
; %bb.1100:
	v_mov_b32_e32 v2, 0
	s_waitcnt vmcnt(0)
	v_mov_b32_e32 v3, v2
	s_mov_b64 s[8:9], 0
	global_store_dwordx4 v[5:6], v[0:3], off
.LBB9_1101:
	s_andn2_b64 vcc, exec, s[8:9]
	s_cbranch_vccnz .LBB9_1103
; %bb.1102:
	v_cvt_f32_f64_e32 v2, v[0:1]
	s_waitcnt vmcnt(0)
	v_mov_b32_e32 v3, 0
	global_store_dwordx2 v[5:6], v[2:3], off
.LBB9_1103:
	s_mov_b64 s[8:9], 0
.LBB9_1104:
	s_andn2_b64 vcc, exec, s[8:9]
	s_cbranch_vccnz .LBB9_1106
; %bb.1105:
	s_movk_i32 s8, 0x1ff
	v_and_or_b32 v2, v1, s8, v0
	v_cmp_ne_u32_e32 vcc, 0, v2
	v_cndmask_b32_e64 v2, 0, 1, vcc
	s_waitcnt vmcnt(0)
	v_lshrrev_b32_e32 v3, 8, v1
	s_movk_i32 s8, 0xffe
	v_bfe_u32 v4, v1, 20, 11
	v_and_or_b32 v2, v3, s8, v2
	v_sub_u32_e32 v7, 0x3f1, v4
	v_or_b32_e32 v3, 0x1000, v2
	v_med3_i32 v7, v7, 0, 13
	v_lshrrev_b32_e32 v8, v7, v3
	v_lshlrev_b32_e32 v7, v7, v8
	v_cmp_ne_u32_e32 vcc, v7, v3
	v_cndmask_b32_e64 v3, 0, 1, vcc
	v_add_u32_e32 v4, 0xfffffc10, v4
	v_or_b32_e32 v3, v8, v3
	v_lshl_or_b32 v7, v4, 12, v2
	v_cmp_gt_i32_e32 vcc, 1, v4
	v_cndmask_b32_e32 v3, v7, v3, vcc
	v_and_b32_e32 v7, 7, v3
	v_cmp_lt_i32_e32 vcc, 5, v7
	v_cndmask_b32_e64 v8, 0, 1, vcc
	v_cmp_eq_u32_e32 vcc, 3, v7
	v_cndmask_b32_e64 v7, 0, 1, vcc
	v_or_b32_e32 v7, v7, v8
	v_lshrrev_b32_e32 v3, 2, v3
	v_add_u32_e32 v3, v3, v7
	v_mov_b32_e32 v7, 0x7c00
	v_cmp_gt_i32_e32 vcc, 31, v4
	v_cndmask_b32_e32 v3, v7, v3, vcc
	v_mov_b32_e32 v8, 0x7e00
	v_cmp_ne_u32_e32 vcc, 0, v2
	s_movk_i32 s8, 0x40f
	v_cndmask_b32_e32 v2, v7, v8, vcc
	v_cmp_eq_u32_e32 vcc, s8, v4
	v_cndmask_b32_e32 v2, v3, v2, vcc
	v_lshrrev_b32_e32 v3, 16, v1
	s_mov_b32 s8, 0x8000
	v_and_or_b32 v2, v3, s8, v2
	v_and_b32_e32 v2, 0xffff, v2
	global_store_dword v[5:6], v2, off
.LBB9_1106:
	s_mov_b64 s[8:9], 0
.LBB9_1107:
	s_andn2_b64 vcc, exec, s[8:9]
	s_cbranch_vccnz .LBB9_1116
; %bb.1108:
	s_sext_i32_i16 s10, s18
	s_cmp_lt_i32 s10, 6
	s_mov_b64 s[8:9], -1
	s_cbranch_scc1 .LBB9_1114
; %bb.1109:
	s_cmp_gt_i32 s10, 6
	s_cbranch_scc0 .LBB9_1111
; %bb.1110:
	s_mov_b64 s[8:9], 0
	global_store_dwordx2 v[5:6], v[0:1], off
.LBB9_1111:
	s_andn2_b64 vcc, exec, s[8:9]
	s_cbranch_vccnz .LBB9_1113
; %bb.1112:
	v_cvt_f32_f64_e32 v2, v[0:1]
	global_store_dword v[5:6], v2, off
.LBB9_1113:
	s_mov_b64 s[8:9], 0
.LBB9_1114:
	s_andn2_b64 vcc, exec, s[8:9]
	s_cbranch_vccnz .LBB9_1116
; %bb.1115:
	s_movk_i32 s8, 0x1ff
	v_and_or_b32 v2, v1, s8, v0
	v_cmp_ne_u32_e32 vcc, 0, v2
	v_cndmask_b32_e64 v2, 0, 1, vcc
	s_waitcnt vmcnt(0)
	v_lshrrev_b32_e32 v3, 8, v1
	s_movk_i32 s8, 0xffe
	v_bfe_u32 v4, v1, 20, 11
	v_and_or_b32 v2, v3, s8, v2
	v_sub_u32_e32 v7, 0x3f1, v4
	v_or_b32_e32 v3, 0x1000, v2
	v_med3_i32 v7, v7, 0, 13
	v_lshrrev_b32_e32 v8, v7, v3
	v_lshlrev_b32_e32 v7, v7, v8
	v_cmp_ne_u32_e32 vcc, v7, v3
	v_cndmask_b32_e64 v3, 0, 1, vcc
	v_add_u32_e32 v4, 0xfffffc10, v4
	v_or_b32_e32 v3, v8, v3
	v_lshl_or_b32 v7, v4, 12, v2
	v_cmp_gt_i32_e32 vcc, 1, v4
	v_cndmask_b32_e32 v3, v7, v3, vcc
	v_and_b32_e32 v7, 7, v3
	v_cmp_lt_i32_e32 vcc, 5, v7
	v_cndmask_b32_e64 v8, 0, 1, vcc
	v_cmp_eq_u32_e32 vcc, 3, v7
	v_cndmask_b32_e64 v7, 0, 1, vcc
	v_or_b32_e32 v7, v7, v8
	v_lshrrev_b32_e32 v3, 2, v3
	v_add_u32_e32 v3, v3, v7
	v_mov_b32_e32 v7, 0x7c00
	v_cmp_gt_i32_e32 vcc, 31, v4
	v_cndmask_b32_e32 v3, v7, v3, vcc
	v_mov_b32_e32 v8, 0x7e00
	v_cmp_ne_u32_e32 vcc, 0, v2
	s_movk_i32 s8, 0x40f
	v_cndmask_b32_e32 v2, v7, v8, vcc
	v_cmp_eq_u32_e32 vcc, s8, v4
	v_cndmask_b32_e32 v2, v3, v2, vcc
	v_lshrrev_b32_e32 v3, 16, v1
	s_mov_b32 s8, 0x8000
	v_and_or_b32 v2, v3, s8, v2
	global_store_short v[5:6], v2, off
.LBB9_1116:
	s_mov_b64 s[8:9], 0
.LBB9_1117:
	s_andn2_b64 vcc, exec, s[8:9]
	s_cbranch_vccnz .LBB9_1133
; %bb.1118:
	s_sext_i32_i16 s10, s18
	s_cmp_lt_i32 s10, 2
	s_mov_b64 s[8:9], -1
	s_cbranch_scc1 .LBB9_1128
; %bb.1119:
	s_cmp_lt_i32 s10, 3
	s_cbranch_scc1 .LBB9_1125
; %bb.1120:
	s_cmp_gt_i32 s10, 3
	s_cbranch_scc0 .LBB9_1122
; %bb.1121:
	s_waitcnt vmcnt(0)
	v_trunc_f64_e32 v[2:3], v[0:1]
	s_movk_i32 s8, 0xffe0
	v_ldexp_f64 v[7:8], v[2:3], s8
	s_mov_b32 s8, 0
	s_mov_b32 s9, 0xc1f00000
	v_floor_f64_e32 v[7:8], v[7:8]
	v_fma_f64 v[2:3], v[7:8], s[8:9], v[2:3]
	v_cvt_i32_f64_e32 v4, v[7:8]
	s_mov_b64 s[8:9], 0
	v_cvt_u32_f64_e32 v3, v[2:3]
	global_store_dwordx2 v[5:6], v[3:4], off
.LBB9_1122:
	s_andn2_b64 vcc, exec, s[8:9]
	s_cbranch_vccnz .LBB9_1124
; %bb.1123:
	v_cvt_i32_f64_e32 v2, v[0:1]
	global_store_dword v[5:6], v2, off
.LBB9_1124:
	s_mov_b64 s[8:9], 0
.LBB9_1125:
	s_andn2_b64 vcc, exec, s[8:9]
	s_cbranch_vccnz .LBB9_1127
; %bb.1126:
	v_cvt_i32_f64_e32 v2, v[0:1]
	global_store_short v[5:6], v2, off
.LBB9_1127:
	s_mov_b64 s[8:9], 0
.LBB9_1128:
	s_andn2_b64 vcc, exec, s[8:9]
	s_cbranch_vccnz .LBB9_1133
; %bb.1129:
	s_sext_i32_i16 s8, s18
	s_cmp_gt_i32 s8, 0
	s_mov_b64 s[8:9], -1
	s_cbranch_scc0 .LBB9_1131
; %bb.1130:
	v_cvt_i32_f64_e32 v2, v[0:1]
	s_mov_b64 s[8:9], 0
	global_store_byte v[5:6], v2, off
.LBB9_1131:
	s_andn2_b64 vcc, exec, s[8:9]
	s_cbranch_vccnz .LBB9_1133
; %bb.1132:
	v_trunc_f64_e32 v[0:1], v[0:1]
	s_movk_i32 s8, 0xffe0
	s_waitcnt vmcnt(0)
	v_ldexp_f64 v[2:3], v[0:1], s8
	s_mov_b32 s8, 0
	s_mov_b32 s9, 0xc1f00000
	v_floor_f64_e32 v[2:3], v[2:3]
	v_fma_f64 v[0:1], v[2:3], s[8:9], v[0:1]
	v_cvt_u32_f64_e32 v0, v[0:1]
	global_store_byte v[5:6], v0, off
.LBB9_1133:
	s_or_b64 exec, exec, s[0:1]
	s_waitcnt lgkmcnt(0)
	s_and_b64 s[28:29], s[2:3], exec
                                        ; implicit-def: $vgpr5
                                        ; implicit-def: $vgpr11
.LBB9_1134:
	s_or_saveexec_b64 s[30:31], s[42:43]
	s_mov_b64 s[0:1], 0
                                        ; implicit-def: $vgpr0_vgpr1
                                        ; implicit-def: $sgpr14
                                        ; implicit-def: $vgpr12_vgpr13
	s_xor_b64 exec, exec, s[30:31]
	s_cbranch_execz .LBB9_1832
; %bb.1135:
	v_cndmask_b32_e64 v0, 0, 1, s[40:41]
	v_cmp_ne_u32_e64 s[0:1], 1, v0
	s_andn2_b64 vcc, exec, s[40:41]
	s_cbranch_vccnz .LBB9_1141
; %bb.1136:
	s_cmp_lg_u32 s33, 0
	s_mov_b32 s36, 0
	s_cbranch_scc0 .LBB9_1142
; %bb.1137:
	s_min_u32 s37, s72, 15
	s_add_i32 s37, s37, 1
	s_cmp_eq_u32 s72, 2
	s_cbranch_scc1 .LBB9_1143
; %bb.1138:
	s_and_b32 s36, s37, 28
	s_add_u32 s2, s34, 0xc4
	s_addc_u32 s3, s35, 0
	v_mov_b32_e32 v0, 0
	s_mov_b32 s38, 0
	s_mov_b64 s[6:7], s[34:35]
	v_mov_b32_e32 v2, 0
	v_mov_b32_e32 v1, v11
.LBB9_1139:                             ; =>This Inner Loop Header: Depth=1
	s_load_dwordx8 s[16:23], s[6:7], 0x4
	s_load_dwordx4 s[24:27], s[6:7], 0x24
	s_load_dwordx8 s[8:15], s[2:3], 0x0
	s_add_u32 s6, s6, 48
	s_addc_u32 s7, s7, 0
	s_waitcnt vmcnt(0) lgkmcnt(0)
	v_mul_hi_u32 v3, s17, v1
	s_add_i32 s38, s38, 4
	s_add_u32 s2, s2, 32
	s_addc_u32 s3, s3, 0
	v_add_u32_e32 v3, v1, v3
	v_lshrrev_b32_e32 v3, s18, v3
	v_mul_lo_u32 v4, v3, s16
	v_mul_hi_u32 v6, s20, v3
	s_cmp_lg_u32 s36, s38
	v_sub_u32_e32 v1, v1, v4
	v_add_u32_e32 v4, v3, v6
	v_mul_lo_u32 v6, v1, s8
	v_mul_lo_u32 v7, v1, s9
	v_lshrrev_b32_e32 v1, s21, v4
	v_mul_lo_u32 v4, v1, s19
	v_mul_hi_u32 v8, s23, v1
	v_sub_u32_e32 v3, v3, v4
	v_add_u32_e32 v4, v1, v8
	v_lshrrev_b32_e32 v4, s24, v4
	v_mul_hi_u32 v9, s26, v4
	v_mul_lo_u32 v10, v4, s22
	v_mul_lo_u32 v8, v3, s10
	v_mul_lo_u32 v3, v3, s11
	v_sub_u32_e32 v10, v1, v10
	v_add_u32_e32 v1, v4, v9
	v_lshrrev_b32_e32 v1, s27, v1
	v_mul_lo_u32 v9, v1, s25
	v_mul_lo_u32 v12, v10, s12
	;; [unrolled: 1-line block ×3, first 2 shown]
	v_add3_u32 v2, v6, v2, v8
	v_sub_u32_e32 v4, v4, v9
	v_mul_lo_u32 v9, v4, s14
	v_mul_lo_u32 v4, v4, s15
	v_add3_u32 v0, v7, v0, v3
	v_add3_u32 v2, v12, v2, v9
	;; [unrolled: 1-line block ×3, first 2 shown]
	s_cbranch_scc1 .LBB9_1139
; %bb.1140:
	s_and_b32 s8, s37, 3
	s_cmp_eq_u32 s8, 0
	s_cbranch_scc0 .LBB9_1144
	s_branch .LBB9_1146
.LBB9_1141:
                                        ; implicit-def: $vgpr2
                                        ; implicit-def: $vgpr0
	s_branch .LBB9_1147
.LBB9_1142:
	v_mov_b32_e32 v2, 0
	v_mov_b32_e32 v0, 0
	s_branch .LBB9_1146
.LBB9_1143:
	v_mov_b32_e32 v2, 0
	v_mov_b32_e32 v0, 0
	;; [unrolled: 1-line block ×3, first 2 shown]
	s_and_b32 s8, s37, 3
	s_cmp_eq_u32 s8, 0
	s_cbranch_scc1 .LBB9_1146
.LBB9_1144:
	s_lshl_b32 s2, s36, 3
	s_add_u32 s2, s34, s2
	s_addc_u32 s3, s35, 0
	s_add_u32 s2, s2, 0xc4
	s_addc_u32 s3, s3, 0
	s_mul_i32 s6, s36, 12
	s_add_u32 s6, s34, s6
	s_addc_u32 s7, s35, 0
.LBB9_1145:                             ; =>This Inner Loop Header: Depth=1
	s_load_dwordx2 s[10:11], s[6:7], 0x4
	s_load_dword s9, s[6:7], 0xc
	s_load_dwordx2 s[12:13], s[2:3], 0x0
	s_add_u32 s6, s6, 12
	s_addc_u32 s7, s7, 0
	s_waitcnt vmcnt(0) lgkmcnt(0)
	v_mul_hi_u32 v3, s11, v1
	s_add_u32 s2, s2, 8
	s_addc_u32 s3, s3, 0
	s_add_i32 s8, s8, -1
	v_add_u32_e32 v3, v1, v3
	v_lshrrev_b32_e32 v4, s9, v3
	v_mul_lo_u32 v3, v4, s10
	s_cmp_lg_u32 s8, 0
	v_sub_u32_e32 v1, v1, v3
	v_mad_u64_u32 v[2:3], s[10:11], v1, s12, v[2:3]
	v_mad_u64_u32 v[0:1], s[10:11], v1, s13, v[0:1]
	v_mov_b32_e32 v1, v4
	s_cbranch_scc1 .LBB9_1145
.LBB9_1146:
	s_cbranch_execnz .LBB9_1149
.LBB9_1147:
	s_load_dwordx4 s[8:11], s[34:35], 0x4
	s_load_dwordx2 s[2:3], s[34:35], 0xc4
	s_cmp_lt_u32 s33, 2
	s_waitcnt lgkmcnt(0)
	v_mul_hi_u32 v0, s9, v11
	v_add_u32_e32 v0, v11, v0
	v_lshrrev_b32_e32 v1, s10, v0
	v_mul_lo_u32 v0, v1, s8
	v_sub_u32_e32 v0, v11, v0
	v_mul_lo_u32 v2, v0, s2
	v_mul_lo_u32 v0, v0, s3
	s_cbranch_scc1 .LBB9_1149
; %bb.1148:
	s_load_dwordx4 s[8:11], s[34:35], 0x10
	s_load_dwordx2 s[2:3], s[34:35], 0xcc
	s_waitcnt vmcnt(0) lgkmcnt(0)
	v_mul_hi_u32 v3, s9, v1
	v_add_u32_e32 v3, v1, v3
	v_lshrrev_b32_e32 v3, s10, v3
	v_mul_lo_u32 v3, v3, s8
	v_sub_u32_e32 v1, v1, v3
	v_mad_u64_u32 v[2:3], s[6:7], v1, s2, v[2:3]
	v_mad_u64_u32 v[0:1], s[2:3], v1, s3, v[0:1]
.LBB9_1149:
	s_and_b64 vcc, exec, s[0:1]
	v_add_u32_e32 v1, 0x80, v11
	s_cbranch_vccnz .LBB9_1155
; %bb.1150:
	s_cmp_lg_u32 s33, 0
	s_mov_b32 s36, 0
	s_cbranch_scc0 .LBB9_1156
; %bb.1151:
	s_min_u32 s37, s72, 15
	s_add_i32 s37, s37, 1
	s_cmp_eq_u32 s72, 2
	s_cbranch_scc1 .LBB9_1157
; %bb.1152:
	s_and_b32 s36, s37, 28
	s_add_u32 s2, s34, 0xc4
	s_addc_u32 s3, s35, 0
	v_mov_b32_e32 v9, 0
	s_mov_b32 s38, 0
	s_mov_b64 s[6:7], s[34:35]
	v_mov_b32_e32 v6, 0
	s_waitcnt vmcnt(0)
	v_mov_b32_e32 v3, v1
.LBB9_1153:                             ; =>This Inner Loop Header: Depth=1
	s_load_dwordx8 s[16:23], s[6:7], 0x4
	s_load_dwordx4 s[24:27], s[6:7], 0x24
	s_load_dwordx8 s[8:15], s[2:3], 0x0
	s_add_u32 s6, s6, 48
	s_addc_u32 s7, s7, 0
	s_waitcnt lgkmcnt(0)
	v_mul_hi_u32 v4, s17, v3
	s_add_i32 s38, s38, 4
	s_add_u32 s2, s2, 32
	s_addc_u32 s3, s3, 0
	v_add_u32_e32 v4, v3, v4
	v_lshrrev_b32_e32 v4, s18, v4
	v_mul_lo_u32 v7, v4, s16
	v_mul_hi_u32 v8, s20, v4
	s_cmp_lg_u32 s36, s38
	v_sub_u32_e32 v3, v3, v7
	v_add_u32_e32 v7, v4, v8
	v_mul_lo_u32 v8, v3, s8
	v_mul_lo_u32 v10, v3, s9
	v_lshrrev_b32_e32 v3, s21, v7
	v_mul_lo_u32 v7, v3, s19
	v_mul_hi_u32 v12, s23, v3
	v_sub_u32_e32 v4, v4, v7
	v_add_u32_e32 v7, v3, v12
	v_lshrrev_b32_e32 v7, s24, v7
	v_mul_hi_u32 v13, s26, v7
	v_mul_lo_u32 v14, v7, s22
	v_mul_lo_u32 v12, v4, s10
	;; [unrolled: 1-line block ×3, first 2 shown]
	v_sub_u32_e32 v14, v3, v14
	v_add_u32_e32 v3, v7, v13
	v_lshrrev_b32_e32 v3, s27, v3
	v_mul_lo_u32 v13, v3, s25
	v_mul_lo_u32 v15, v14, s12
	;; [unrolled: 1-line block ×3, first 2 shown]
	v_add3_u32 v6, v8, v6, v12
	v_sub_u32_e32 v7, v7, v13
	v_mul_lo_u32 v13, v7, s14
	v_mul_lo_u32 v7, v7, s15
	v_add3_u32 v4, v10, v9, v4
	v_add3_u32 v6, v15, v6, v13
	;; [unrolled: 1-line block ×3, first 2 shown]
	s_cbranch_scc1 .LBB9_1153
; %bb.1154:
	s_and_b32 s8, s37, 3
	s_cmp_eq_u32 s8, 0
	s_cbranch_scc0 .LBB9_1158
	s_branch .LBB9_1160
.LBB9_1155:
                                        ; implicit-def: $vgpr6
                                        ; implicit-def: $vgpr9
	s_branch .LBB9_1161
.LBB9_1156:
	v_mov_b32_e32 v6, 0
	v_mov_b32_e32 v9, 0
	s_branch .LBB9_1160
.LBB9_1157:
	v_mov_b32_e32 v6, 0
	v_mov_b32_e32 v9, 0
	s_waitcnt vmcnt(0)
	v_mov_b32_e32 v3, v1
	s_and_b32 s8, s37, 3
	s_cmp_eq_u32 s8, 0
	s_cbranch_scc1 .LBB9_1160
.LBB9_1158:
	s_lshl_b32 s2, s36, 3
	s_add_u32 s2, s34, s2
	s_addc_u32 s3, s35, 0
	s_add_u32 s2, s2, 0xc4
	s_addc_u32 s3, s3, 0
	s_mul_i32 s6, s36, 12
	s_add_u32 s6, s34, s6
	s_addc_u32 s7, s35, 0
.LBB9_1159:                             ; =>This Inner Loop Header: Depth=1
	s_load_dwordx2 s[10:11], s[6:7], 0x4
	s_load_dword s9, s[6:7], 0xc
	s_load_dwordx2 s[12:13], s[2:3], 0x0
	s_add_u32 s6, s6, 12
	s_addc_u32 s7, s7, 0
	s_waitcnt lgkmcnt(0)
	v_mul_hi_u32 v4, s11, v3
	s_add_u32 s2, s2, 8
	s_addc_u32 s3, s3, 0
	s_add_i32 s8, s8, -1
	v_add_u32_e32 v4, v3, v4
	v_lshrrev_b32_e32 v4, s9, v4
	v_mul_lo_u32 v7, v4, s10
	s_cmp_lg_u32 s8, 0
	v_sub_u32_e32 v3, v3, v7
	v_mad_u64_u32 v[6:7], s[10:11], v3, s12, v[6:7]
	v_mad_u64_u32 v[9:10], s[10:11], v3, s13, v[9:10]
	v_mov_b32_e32 v3, v4
	s_cbranch_scc1 .LBB9_1159
.LBB9_1160:
	s_cbranch_execnz .LBB9_1163
.LBB9_1161:
	s_load_dwordx4 s[8:11], s[34:35], 0x4
	s_load_dwordx2 s[2:3], s[34:35], 0xc4
	s_cmp_lt_u32 s33, 2
	s_waitcnt vmcnt(0) lgkmcnt(0)
	v_mul_hi_u32 v3, s9, v1
	v_add_u32_e32 v3, v1, v3
	v_lshrrev_b32_e32 v3, s10, v3
	v_mul_lo_u32 v4, v3, s8
	v_sub_u32_e32 v1, v1, v4
	v_mul_lo_u32 v6, v1, s2
	v_mul_lo_u32 v9, v1, s3
	s_cbranch_scc1 .LBB9_1163
; %bb.1162:
	s_load_dwordx4 s[8:11], s[34:35], 0x10
	s_load_dwordx2 s[2:3], s[34:35], 0xcc
	s_waitcnt lgkmcnt(0)
	v_mul_hi_u32 v1, s9, v3
	v_add_u32_e32 v1, v3, v1
	v_lshrrev_b32_e32 v1, s10, v1
	v_mul_lo_u32 v1, v1, s8
	v_sub_u32_e32 v1, v3, v1
	v_mad_u64_u32 v[6:7], s[6:7], v1, s2, v[6:7]
	v_mad_u64_u32 v[9:10], s[2:3], v1, s3, v[9:10]
.LBB9_1163:
	s_and_b64 vcc, exec, s[0:1]
	v_add_u32_e32 v1, 0x100, v11
	s_cbranch_vccnz .LBB9_1169
; %bb.1164:
	s_cmp_lg_u32 s33, 0
	s_mov_b32 s36, 0
	s_cbranch_scc0 .LBB9_1170
; %bb.1165:
	s_min_u32 s37, s72, 15
	s_add_i32 s37, s37, 1
	s_cmp_eq_u32 s72, 2
	s_cbranch_scc1 .LBB9_1171
; %bb.1166:
	s_and_b32 s36, s37, 28
	s_add_u32 s2, s34, 0xc4
	s_addc_u32 s3, s35, 0
	v_mov_b32_e32 v7, 0
	s_mov_b32 s38, 0
	s_mov_b64 s[6:7], s[34:35]
	v_mov_b32_e32 v10, 0
	s_waitcnt vmcnt(0)
	v_mov_b32_e32 v3, v1
.LBB9_1167:                             ; =>This Inner Loop Header: Depth=1
	s_load_dwordx8 s[16:23], s[6:7], 0x4
	s_load_dwordx4 s[24:27], s[6:7], 0x24
	s_load_dwordx8 s[8:15], s[2:3], 0x0
	s_add_u32 s6, s6, 48
	s_addc_u32 s7, s7, 0
	s_waitcnt lgkmcnt(0)
	v_mul_hi_u32 v4, s17, v3
	s_add_i32 s38, s38, 4
	s_add_u32 s2, s2, 32
	s_addc_u32 s3, s3, 0
	v_add_u32_e32 v4, v3, v4
	v_lshrrev_b32_e32 v4, s18, v4
	v_mul_lo_u32 v8, v4, s16
	v_mul_hi_u32 v11, s20, v4
	s_cmp_lg_u32 s36, s38
	v_sub_u32_e32 v3, v3, v8
	v_add_u32_e32 v8, v4, v11
	v_mul_lo_u32 v11, v3, s8
	v_mul_lo_u32 v12, v3, s9
	v_lshrrev_b32_e32 v3, s21, v8
	v_mul_lo_u32 v8, v3, s19
	v_mul_hi_u32 v13, s23, v3
	v_sub_u32_e32 v4, v4, v8
	v_add_u32_e32 v8, v3, v13
	v_lshrrev_b32_e32 v8, s24, v8
	v_mul_hi_u32 v14, s26, v8
	v_mul_lo_u32 v15, v8, s22
	v_mul_lo_u32 v13, v4, s10
	;; [unrolled: 1-line block ×3, first 2 shown]
	v_sub_u32_e32 v15, v3, v15
	v_add_u32_e32 v3, v8, v14
	v_lshrrev_b32_e32 v3, s27, v3
	v_mul_lo_u32 v14, v3, s25
	v_mul_lo_u32 v16, v15, s12
	;; [unrolled: 1-line block ×3, first 2 shown]
	v_add3_u32 v10, v11, v10, v13
	v_sub_u32_e32 v8, v8, v14
	v_mul_lo_u32 v14, v8, s14
	v_mul_lo_u32 v8, v8, s15
	v_add3_u32 v4, v12, v7, v4
	v_add3_u32 v10, v16, v10, v14
	;; [unrolled: 1-line block ×3, first 2 shown]
	s_cbranch_scc1 .LBB9_1167
; %bb.1168:
	s_and_b32 s8, s37, 3
	s_cmp_eq_u32 s8, 0
	s_cbranch_scc0 .LBB9_1172
	s_branch .LBB9_1174
.LBB9_1169:
                                        ; implicit-def: $vgpr10
                                        ; implicit-def: $vgpr7
	s_branch .LBB9_1175
.LBB9_1170:
	v_mov_b32_e32 v10, 0
	v_mov_b32_e32 v7, 0
	s_branch .LBB9_1174
.LBB9_1171:
	v_mov_b32_e32 v10, 0
	v_mov_b32_e32 v7, 0
	s_waitcnt vmcnt(0)
	v_mov_b32_e32 v3, v1
	s_and_b32 s8, s37, 3
	s_cmp_eq_u32 s8, 0
	s_cbranch_scc1 .LBB9_1174
.LBB9_1172:
	s_lshl_b32 s2, s36, 3
	s_add_u32 s2, s34, s2
	s_addc_u32 s3, s35, 0
	s_add_u32 s2, s2, 0xc4
	s_addc_u32 s3, s3, 0
	s_mul_i32 s6, s36, 12
	s_add_u32 s6, s34, s6
	s_addc_u32 s7, s35, 0
.LBB9_1173:                             ; =>This Inner Loop Header: Depth=1
	s_load_dwordx2 s[10:11], s[6:7], 0x4
	s_load_dword s9, s[6:7], 0xc
	s_load_dwordx2 s[12:13], s[2:3], 0x0
	s_add_u32 s6, s6, 12
	s_addc_u32 s7, s7, 0
	s_waitcnt lgkmcnt(0)
	v_mul_hi_u32 v4, s11, v3
	s_add_u32 s2, s2, 8
	s_addc_u32 s3, s3, 0
	s_add_i32 s8, s8, -1
	v_add_u32_e32 v4, v3, v4
	v_lshrrev_b32_e32 v4, s9, v4
	v_mul_lo_u32 v8, v4, s10
	s_cmp_lg_u32 s8, 0
	v_sub_u32_e32 v3, v3, v8
	v_mad_u64_u32 v[10:11], s[10:11], v3, s12, v[10:11]
	v_mad_u64_u32 v[7:8], s[10:11], v3, s13, v[7:8]
	v_mov_b32_e32 v3, v4
	s_cbranch_scc1 .LBB9_1173
.LBB9_1174:
	s_cbranch_execnz .LBB9_1177
.LBB9_1175:
	s_load_dwordx4 s[8:11], s[34:35], 0x4
	s_load_dwordx2 s[2:3], s[34:35], 0xc4
	s_cmp_lt_u32 s33, 2
	s_waitcnt vmcnt(0) lgkmcnt(0)
	v_mul_hi_u32 v3, s9, v1
	v_add_u32_e32 v3, v1, v3
	v_lshrrev_b32_e32 v3, s10, v3
	v_mul_lo_u32 v4, v3, s8
	v_sub_u32_e32 v1, v1, v4
	v_mul_lo_u32 v10, v1, s2
	v_mul_lo_u32 v7, v1, s3
	s_cbranch_scc1 .LBB9_1177
; %bb.1176:
	s_load_dwordx4 s[8:11], s[34:35], 0x10
	s_load_dwordx2 s[2:3], s[34:35], 0xcc
	s_waitcnt lgkmcnt(0)
	v_mul_hi_u32 v1, s9, v3
	v_add_u32_e32 v1, v3, v1
	v_lshrrev_b32_e32 v1, s10, v1
	v_mul_lo_u32 v1, v1, s8
	v_sub_u32_e32 v1, v3, v1
	v_mad_u64_u32 v[10:11], s[6:7], v1, s2, v[10:11]
	v_mad_u64_u32 v[7:8], s[2:3], v1, s3, v[7:8]
.LBB9_1177:
	s_and_b64 vcc, exec, s[0:1]
	s_cbranch_vccnz .LBB9_1183
; %bb.1178:
	s_cmp_lg_u32 s33, 0
	s_mov_b32 s26, 0
	s_cbranch_scc0 .LBB9_1184
; %bb.1179:
	s_min_u32 s27, s72, 15
	s_add_i32 s27, s27, 1
	s_cmp_eq_u32 s72, 2
	s_cbranch_scc1 .LBB9_1185
; %bb.1180:
	s_and_b32 s26, s27, 28
	s_add_u32 s6, s34, 0xc4
	s_addc_u32 s7, s35, 0
	s_waitcnt vmcnt(0)
	v_mov_b32_e32 v3, 0
	s_mov_b32 s36, 0
	s_mov_b64 s[24:25], s[34:35]
	v_mov_b32_e32 v14, 0
	v_mov_b32_e32 v1, v5
.LBB9_1181:                             ; =>This Inner Loop Header: Depth=1
	s_load_dwordx8 s[16:23], s[24:25], 0x4
	s_load_dwordx4 s[0:3], s[24:25], 0x24
	s_load_dwordx8 s[8:15], s[6:7], 0x0
	s_add_u32 s24, s24, 48
	s_addc_u32 s25, s25, 0
	s_waitcnt lgkmcnt(0)
	v_mul_hi_u32 v4, s17, v1
	s_add_i32 s36, s36, 4
	s_add_u32 s6, s6, 32
	s_addc_u32 s7, s7, 0
	v_add_u32_e32 v4, v1, v4
	v_lshrrev_b32_e32 v4, s18, v4
	v_mul_lo_u32 v8, v4, s16
	v_mul_hi_u32 v11, s20, v4
	s_cmp_lg_u32 s26, s36
	v_sub_u32_e32 v1, v1, v8
	v_add_u32_e32 v8, v4, v11
	v_mul_lo_u32 v11, v1, s8
	v_mul_lo_u32 v12, v1, s9
	v_lshrrev_b32_e32 v1, s21, v8
	v_mul_lo_u32 v8, v1, s19
	v_mul_hi_u32 v13, s23, v1
	v_sub_u32_e32 v4, v4, v8
	v_add_u32_e32 v8, v1, v13
	v_lshrrev_b32_e32 v8, s0, v8
	v_mul_hi_u32 v15, s2, v8
	v_mul_lo_u32 v16, v8, s22
	v_mul_lo_u32 v13, v4, s10
	;; [unrolled: 1-line block ×3, first 2 shown]
	v_sub_u32_e32 v16, v1, v16
	v_add_u32_e32 v1, v8, v15
	v_lshrrev_b32_e32 v1, s3, v1
	v_mul_lo_u32 v15, v1, s1
	v_mul_lo_u32 v17, v16, s12
	;; [unrolled: 1-line block ×3, first 2 shown]
	v_add3_u32 v11, v11, v14, v13
	v_sub_u32_e32 v8, v8, v15
	v_mul_lo_u32 v15, v8, s14
	v_mul_lo_u32 v8, v8, s15
	v_add3_u32 v3, v12, v3, v4
	v_add3_u32 v14, v17, v11, v15
	;; [unrolled: 1-line block ×3, first 2 shown]
	s_cbranch_scc1 .LBB9_1181
; %bb.1182:
	s_and_b32 s6, s27, 3
	s_cmp_eq_u32 s6, 0
	s_cbranch_scc0 .LBB9_1186
	s_branch .LBB9_1188
.LBB9_1183:
                                        ; implicit-def: $vgpr14
                                        ; implicit-def: $vgpr3
	s_branch .LBB9_1189
.LBB9_1184:
	v_mov_b32_e32 v14, 0
	s_waitcnt vmcnt(0)
	v_mov_b32_e32 v3, 0
	s_branch .LBB9_1188
.LBB9_1185:
	v_mov_b32_e32 v14, 0
	s_waitcnt vmcnt(0)
	v_mov_b32_e32 v3, 0
	v_mov_b32_e32 v1, v5
	s_and_b32 s6, s27, 3
	s_cmp_eq_u32 s6, 0
	s_cbranch_scc1 .LBB9_1188
.LBB9_1186:
	s_lshl_b32 s0, s26, 3
	s_add_u32 s0, s34, s0
	s_addc_u32 s1, s35, 0
	s_add_u32 s0, s0, 0xc4
	s_addc_u32 s1, s1, 0
	s_mul_i32 s2, s26, 12
	s_add_u32 s2, s34, s2
	s_addc_u32 s3, s35, 0
.LBB9_1187:                             ; =>This Inner Loop Header: Depth=1
	s_load_dwordx2 s[8:9], s[2:3], 0x4
	s_load_dword s7, s[2:3], 0xc
	s_load_dwordx2 s[10:11], s[0:1], 0x0
	s_add_u32 s2, s2, 12
	s_addc_u32 s3, s3, 0
	s_waitcnt lgkmcnt(0)
	v_mul_hi_u32 v4, s9, v1
	s_add_u32 s0, s0, 8
	s_addc_u32 s1, s1, 0
	s_add_i32 s6, s6, -1
	v_add_u32_e32 v4, v1, v4
	v_lshrrev_b32_e32 v8, s7, v4
	v_mul_lo_u32 v4, v8, s8
	s_cmp_lg_u32 s6, 0
	v_sub_u32_e32 v1, v1, v4
	v_mad_u64_u32 v[14:15], s[8:9], v1, s10, v[14:15]
	v_mad_u64_u32 v[3:4], s[8:9], v1, s11, v[3:4]
	v_mov_b32_e32 v1, v8
	s_cbranch_scc1 .LBB9_1187
.LBB9_1188:
	s_cbranch_execnz .LBB9_1191
.LBB9_1189:
	s_load_dwordx4 s[0:3], s[34:35], 0x4
	s_load_dwordx2 s[6:7], s[34:35], 0xc4
	s_cmp_lt_u32 s33, 2
	s_waitcnt lgkmcnt(0)
	v_mul_hi_u32 v1, s1, v5
	v_add_u32_e32 v1, v5, v1
	v_lshrrev_b32_e32 v1, s2, v1
	s_waitcnt vmcnt(0)
	v_mul_lo_u32 v3, v1, s0
	v_sub_u32_e32 v3, v5, v3
	v_mul_lo_u32 v14, v3, s6
	v_mul_lo_u32 v3, v3, s7
	s_cbranch_scc1 .LBB9_1191
; %bb.1190:
	s_load_dwordx4 s[0:3], s[34:35], 0x10
	s_load_dwordx2 s[6:7], s[34:35], 0xcc
	s_waitcnt lgkmcnt(0)
	v_mul_hi_u32 v4, s1, v1
	v_add_u32_e32 v4, v1, v4
	v_lshrrev_b32_e32 v4, s2, v4
	v_mul_lo_u32 v4, v4, s0
	v_sub_u32_e32 v1, v1, v4
	v_mad_u64_u32 v[14:15], s[0:1], v1, s6, v[14:15]
	v_mad_u64_u32 v[3:4], s[0:1], v1, s7, v[3:4]
.LBB9_1191:
	s_load_dwordx4 s[8:11], s[34:35], 0x148
	s_load_dword s16, s[4:5], 0x160
	s_waitcnt lgkmcnt(0)
	v_mov_b32_e32 v1, s11
	s_bfe_u32 s14, s16, 0x80010
	v_add_co_u32_e32 v0, vcc, s10, v0
	s_cmp_lt_i32 s14, 11
	v_addc_co_u32_e32 v1, vcc, 0, v1, vcc
	s_cbranch_scc1 .LBB9_1198
; %bb.1192:
	s_and_b32 s15, 0xffff, s14
	s_cmp_gt_i32 s15, 25
	s_mov_b64 s[4:5], 0
	s_cbranch_scc0 .LBB9_1200
; %bb.1193:
	s_cmp_gt_i32 s15, 28
	s_cbranch_scc0 .LBB9_1201
; %bb.1194:
	s_cmp_gt_i32 s15, 43
	;; [unrolled: 3-line block ×3, first 2 shown]
	s_cbranch_scc0 .LBB9_1203
; %bb.1196:
	s_cmp_eq_u32 s15, 46
	s_mov_b64 s[2:3], 0
	s_cbranch_scc0 .LBB9_1206
; %bb.1197:
	global_load_dword v4, v[0:1], off
	s_mov_b64 s[0:1], 0
	s_mov_b64 s[6:7], -1
	s_waitcnt vmcnt(0)
	v_lshlrev_b32_e32 v4, 16, v4
	v_cvt_f64_f32_e32 v[4:5], v4
	s_branch .LBB9_1207
.LBB9_1198:
	s_mov_b64 s[6:7], 0
                                        ; implicit-def: $vgpr4_vgpr5
	s_mov_b64 s[2:3], s[28:29]
	s_cbranch_execnz .LBB9_1270
.LBB9_1199:
	s_andn2_b64 vcc, exec, s[6:7]
	s_cbranch_vccz .LBB9_1315
	s_branch .LBB9_1829
.LBB9_1200:
	s_mov_b64 s[6:7], 0
	s_mov_b64 s[0:1], 0
                                        ; implicit-def: $vgpr4_vgpr5
	s_cbranch_execnz .LBB9_1237
	s_branch .LBB9_1266
.LBB9_1201:
	s_mov_b64 s[2:3], -1
	s_mov_b64 s[6:7], 0
	s_mov_b64 s[0:1], 0
                                        ; implicit-def: $vgpr4_vgpr5
	s_branch .LBB9_1216
.LBB9_1202:
	s_mov_b64 s[6:7], 0
	s_mov_b64 s[0:1], 0
                                        ; implicit-def: $vgpr4_vgpr5
	s_cbranch_execnz .LBB9_1212
	s_branch .LBB9_1215
.LBB9_1203:
	s_mov_b64 s[2:3], -1
	s_mov_b64 s[6:7], 0
	s_mov_b64 s[0:1], 0
                                        ; implicit-def: $vgpr4_vgpr5
	s_branch .LBB9_1207
.LBB9_1204:
	s_andn2_saveexec_b64 s[14:15], s[14:15]
	s_cbranch_execz .LBB9_1047
.LBB9_1205:
	s_mov_b32 s16, 0x46000000
	v_add_f32_e64 v3, |v2|, s16
	v_and_b32_e32 v3, 0xff, v3
	v_cmp_ne_u32_e32 vcc, 0, v3
	s_andn2_b64 s[12:13], s[12:13], exec
	s_and_b64 s[16:17], vcc, exec
	s_or_b64 s[12:13], s[12:13], s[16:17]
	s_or_b64 exec, exec, s[14:15]
	v_mov_b32_e32 v4, 0
	s_and_saveexec_b64 s[14:15], s[12:13]
	s_cbranch_execnz .LBB9_1048
	s_branch .LBB9_1049
.LBB9_1206:
	s_mov_b64 s[0:1], -1
                                        ; implicit-def: $vgpr4_vgpr5
	s_mov_b64 s[6:7], 0
.LBB9_1207:
	s_and_b64 vcc, exec, s[2:3]
	s_cbranch_vccz .LBB9_1210
; %bb.1208:
	s_cmp_eq_u32 s15, 44
	s_cbranch_scc0 .LBB9_1211
; %bb.1209:
	global_load_ubyte v8, v[0:1], off
	s_movk_i32 s2, 0xff
	v_bfrev_b32_e32 v11, 4
	v_mov_b32_e32 v12, 0x7ff80000
	v_bfrev_b32_e32 v13, 28
	s_mov_b64 s[0:1], 0
	s_mov_b64 s[6:7], -1
	s_waitcnt vmcnt(0)
	v_lshlrev_b32_e32 v4, 23, v8
	v_cvt_f64_f32_e32 v[4:5], v4
	v_cmp_ne_u32_e32 vcc, s2, v8
	v_cndmask_b32_e32 v4, v11, v4, vcc
	v_cndmask_b32_e32 v5, v12, v5, vcc
	v_cmp_ne_u32_e32 vcc, 0, v8
	v_cndmask_b32_e32 v5, v13, v5, vcc
	v_cndmask_b32_e32 v4, 0, v4, vcc
.LBB9_1210:
	s_branch .LBB9_1215
.LBB9_1211:
	s_mov_b64 s[0:1], -1
                                        ; implicit-def: $vgpr4_vgpr5
	s_branch .LBB9_1215
.LBB9_1212:
	s_cmp_eq_u32 s15, 29
	s_cbranch_scc0 .LBB9_1214
; %bb.1213:
	global_load_dwordx2 v[4:5], v[0:1], off
	s_mov_b64 s[0:1], 0
	s_mov_b64 s[6:7], -1
	s_mov_b64 s[2:3], 0
	s_waitcnt vmcnt(0)
	v_cvt_f64_u32_e32 v[11:12], v5
	v_cvt_f64_u32_e32 v[4:5], v4
	v_ldexp_f64 v[11:12], v[11:12], 32
	v_add_f64 v[4:5], v[11:12], v[4:5]
	s_branch .LBB9_1216
.LBB9_1214:
	s_mov_b64 s[0:1], -1
                                        ; implicit-def: $vgpr4_vgpr5
.LBB9_1215:
	s_mov_b64 s[2:3], 0
.LBB9_1216:
	s_and_b64 vcc, exec, s[2:3]
	s_cbranch_vccz .LBB9_1236
; %bb.1217:
	s_cmp_lt_i32 s15, 27
	s_cbranch_scc1 .LBB9_1220
; %bb.1218:
	s_cmp_gt_i32 s15, 27
	s_cbranch_scc0 .LBB9_1221
; %bb.1219:
	global_load_dword v4, v[0:1], off
	s_mov_b64 s[2:3], 0
	s_waitcnt vmcnt(0)
	v_cvt_f64_u32_e32 v[4:5], v4
	s_branch .LBB9_1222
.LBB9_1220:
	s_mov_b64 s[2:3], -1
                                        ; implicit-def: $vgpr4_vgpr5
	s_branch .LBB9_1225
.LBB9_1221:
	s_mov_b64 s[2:3], -1
                                        ; implicit-def: $vgpr4_vgpr5
.LBB9_1222:
	s_andn2_b64 vcc, exec, s[2:3]
	s_cbranch_vccnz .LBB9_1224
; %bb.1223:
	global_load_ushort v4, v[0:1], off
	s_waitcnt vmcnt(0)
	v_cvt_f64_u32_e32 v[4:5], v4
.LBB9_1224:
	s_mov_b64 s[2:3], 0
.LBB9_1225:
	s_andn2_b64 vcc, exec, s[2:3]
	s_cbranch_vccnz .LBB9_1235
; %bb.1226:
	global_load_ubyte v8, v[0:1], off
	s_movk_i32 s2, 0x7f
	s_waitcnt vmcnt(0)
	v_cmp_lt_i16_e32 vcc, s2, v8
	s_mov_b64 s[2:3], 0
	s_and_saveexec_b64 s[6:7], vcc
	s_xor_b64 s[6:7], exec, s[6:7]
	s_cbranch_execz .LBB9_1230
; %bb.1227:
	s_movk_i32 s2, 0x80
	v_cmp_eq_u16_e32 vcc, s2, v8
	s_mov_b64 s[2:3], -1
	s_and_saveexec_b64 s[12:13], vcc
; %bb.1228:
	s_xor_b64 s[2:3], exec, -1
; %bb.1229:
	s_or_b64 exec, exec, s[12:13]
	s_and_b64 s[2:3], s[2:3], exec
.LBB9_1230:
	s_or_saveexec_b64 s[6:7], s[6:7]
	v_bfrev_b32_e32 v4, 4
	v_mov_b32_e32 v5, 0x7ff80000
	s_xor_b64 exec, exec, s[6:7]
; %bb.1231:
	v_cmp_ne_u16_e32 vcc, 0, v8
	v_mov_b32_e32 v4, 0
	s_andn2_b64 s[2:3], s[2:3], exec
	s_and_b64 s[12:13], vcc, exec
	v_mov_b32_e32 v5, 0
	s_or_b64 s[2:3], s[2:3], s[12:13]
; %bb.1232:
	s_or_b64 exec, exec, s[6:7]
	s_and_saveexec_b64 s[6:7], s[2:3]
	s_cbranch_execz .LBB9_1234
; %bb.1233:
	v_and_b32_e32 v5, 0xffff, v8
	v_lshlrev_b32_e32 v4, 24, v8
	v_and_b32_e32 v8, 7, v5
	v_ffbh_u32_e32 v12, v8
	v_min_u32_e32 v12, 32, v12
	v_subrev_u32_e32 v13, 28, v12
	v_bfe_u32 v11, v5, 3, 4
	v_lshlrev_b32_e32 v5, v13, v5
	v_sub_u32_e32 v12, 29, v12
	v_and_b32_e32 v5, 7, v5
	v_cmp_eq_u32_e32 vcc, 0, v11
	v_cndmask_b32_e32 v11, v11, v12, vcc
	v_cndmask_b32_e32 v5, v8, v5, vcc
	v_mov_b32_e32 v8, 0x3b800000
	v_lshlrev_b32_e32 v5, 20, v5
	v_and_b32_e32 v4, 0x80000000, v4
	v_lshl_add_u32 v8, v11, 23, v8
	v_or3_b32 v4, v4, v8, v5
	v_cvt_f64_f32_e32 v[4:5], v4
.LBB9_1234:
	s_or_b64 exec, exec, s[6:7]
.LBB9_1235:
	s_mov_b64 s[6:7], -1
.LBB9_1236:
	s_branch .LBB9_1266
.LBB9_1237:
	s_cmp_gt_i32 s15, 22
	s_cbranch_scc0 .LBB9_1249
; %bb.1238:
	s_cmp_lt_i32 s15, 24
	s_cbranch_scc1 .LBB9_1250
; %bb.1239:
	s_cmp_gt_i32 s15, 24
	s_cbranch_scc0 .LBB9_1251
; %bb.1240:
	global_load_ubyte v8, v[0:1], off
	s_movk_i32 s2, 0x7f
	s_waitcnt vmcnt(0)
	v_cmp_lt_i16_e32 vcc, s2, v8
	s_mov_b64 s[2:3], 0
	s_and_saveexec_b64 s[4:5], vcc
	s_xor_b64 s[4:5], exec, s[4:5]
	s_cbranch_execz .LBB9_1244
; %bb.1241:
	s_movk_i32 s2, 0x80
	v_cmp_eq_u16_e32 vcc, s2, v8
	s_mov_b64 s[2:3], -1
	s_and_saveexec_b64 s[6:7], vcc
; %bb.1242:
	s_xor_b64 s[2:3], exec, -1
; %bb.1243:
	s_or_b64 exec, exec, s[6:7]
	s_and_b64 s[2:3], s[2:3], exec
.LBB9_1244:
	s_or_saveexec_b64 s[4:5], s[4:5]
	v_bfrev_b32_e32 v4, 4
	v_mov_b32_e32 v5, 0x7ff80000
	s_xor_b64 exec, exec, s[4:5]
; %bb.1245:
	v_cmp_ne_u16_e32 vcc, 0, v8
	v_mov_b32_e32 v4, 0
	s_andn2_b64 s[2:3], s[2:3], exec
	s_and_b64 s[6:7], vcc, exec
	v_mov_b32_e32 v5, 0
	s_or_b64 s[2:3], s[2:3], s[6:7]
; %bb.1246:
	s_or_b64 exec, exec, s[4:5]
	s_and_saveexec_b64 s[4:5], s[2:3]
	s_cbranch_execz .LBB9_1248
; %bb.1247:
	v_and_b32_e32 v5, 0xffff, v8
	v_lshlrev_b32_e32 v4, 24, v8
	v_and_b32_e32 v8, 3, v5
	v_ffbh_u32_e32 v12, v8
	v_min_u32_e32 v12, 32, v12
	v_subrev_u32_e32 v13, 29, v12
	v_bfe_u32 v11, v5, 2, 5
	v_lshlrev_b32_e32 v5, v13, v5
	v_sub_u32_e32 v12, 30, v12
	v_and_b32_e32 v5, 3, v5
	v_cmp_eq_u32_e32 vcc, 0, v11
	v_cndmask_b32_e32 v11, v11, v12, vcc
	v_cndmask_b32_e32 v5, v8, v5, vcc
	v_mov_b32_e32 v8, 0x37800000
	v_lshlrev_b32_e32 v5, 21, v5
	v_and_b32_e32 v4, 0x80000000, v4
	v_lshl_add_u32 v8, v11, 23, v8
	v_or3_b32 v4, v4, v8, v5
	v_cvt_f64_f32_e32 v[4:5], v4
.LBB9_1248:
	s_or_b64 exec, exec, s[4:5]
	s_mov_b64 s[2:3], 0
	s_branch .LBB9_1252
.LBB9_1249:
                                        ; implicit-def: $vgpr4_vgpr5
	s_mov_b64 s[4:5], 0
	s_branch .LBB9_1258
.LBB9_1250:
	s_mov_b64 s[2:3], -1
                                        ; implicit-def: $vgpr4_vgpr5
	s_branch .LBB9_1255
.LBB9_1251:
	s_mov_b64 s[2:3], -1
                                        ; implicit-def: $vgpr4_vgpr5
.LBB9_1252:
	s_and_b64 vcc, exec, s[2:3]
	s_cbranch_vccz .LBB9_1254
; %bb.1253:
	global_load_ubyte v4, v[0:1], off
	s_mov_b32 s2, 0x7f800000
	s_waitcnt vmcnt(0)
	v_lshlrev_b32_e32 v4, 24, v4
	v_and_b32_e32 v5, 0x7f000000, v4
	v_ffbh_u32_e32 v8, v5
	v_min_u32_e32 v8, 32, v8
	v_sub_u32_e64 v8, v8, 4 clamp
	v_lshlrev_b32_e32 v12, v8, v5
	v_lshlrev_b32_e32 v8, 23, v8
	v_lshrrev_b32_e32 v12, 4, v12
	v_add_u32_e32 v11, 0x1000000, v5
	v_sub_u32_e32 v8, v12, v8
	v_ashrrev_i32_e32 v11, 8, v11
	v_add_u32_e32 v8, 0x3c000000, v8
	v_and_or_b32 v8, v11, s2, v8
	v_cmp_ne_u32_e32 vcc, 0, v5
	v_cndmask_b32_e32 v5, 0, v8, vcc
	s_brev_b32 s2, 1
	v_and_or_b32 v4, v4, s2, v5
	v_cvt_f64_f32_e32 v[4:5], v4
.LBB9_1254:
	s_mov_b64 s[2:3], 0
.LBB9_1255:
	s_andn2_b64 vcc, exec, s[2:3]
	s_cbranch_vccnz .LBB9_1257
; %bb.1256:
	global_load_ubyte v4, v[0:1], off
	s_movk_i32 s2, 0x7f00
	s_brev_b32 s3, 16
	s_waitcnt vmcnt(0)
	v_lshlrev_b16_e32 v5, 8, v4
	v_lshlrev_b32_e32 v4, 25, v4
	v_lshrrev_b32_e32 v8, 4, v4
	v_and_or_b32 v11, v5, s2, 0.5
	v_or_b32_e32 v8, 0x70000000, v8
	v_add_f32_e32 v11, -0.5, v11
	v_mul_f32_e32 v8, 0x7800000, v8
	v_cmp_gt_u32_e32 vcc, s3, v4
	v_bfe_i32 v5, v5, 0, 16
	v_cndmask_b32_e32 v4, v8, v11, vcc
	s_brev_b32 s2, 1
	v_and_or_b32 v4, v5, s2, v4
	v_cvt_f64_f32_e32 v[4:5], v4
.LBB9_1257:
	s_mov_b64 s[6:7], -1
	s_mov_b64 s[4:5], 0
	s_cbranch_execnz .LBB9_1266
.LBB9_1258:
	s_cmp_gt_i32 s15, 14
	s_cbranch_scc0 .LBB9_1261
; %bb.1259:
	s_cmp_eq_u32 s15, 15
	s_cbranch_scc0 .LBB9_1262
; %bb.1260:
	global_load_ushort v4, v[0:1], off
	s_mov_b64 s[0:1], 0
	s_mov_b64 s[6:7], -1
	s_waitcnt vmcnt(0)
	v_lshlrev_b32_e32 v4, 16, v4
	v_cvt_f64_f32_e32 v[4:5], v4
	s_branch .LBB9_1263
.LBB9_1261:
	s_mov_b64 s[2:3], -1
                                        ; implicit-def: $vgpr4_vgpr5
	s_branch .LBB9_1264
.LBB9_1262:
	s_mov_b64 s[0:1], -1
                                        ; implicit-def: $vgpr4_vgpr5
.LBB9_1263:
	s_mov_b64 s[2:3], 0
.LBB9_1264:
	s_and_b64 vcc, exec, s[2:3]
	s_cbranch_vccz .LBB9_1266
; %bb.1265:
	s_cmp_lg_u32 s15, 11
	s_mov_b64 s[4:5], -1
	s_cselect_b64 s[0:1], -1, 0
.LBB9_1266:
	s_and_b64 vcc, exec, s[0:1]
	s_mov_b64 s[2:3], s[28:29]
	s_cbranch_vccnz .LBB9_1339
; %bb.1267:
	s_andn2_b64 vcc, exec, s[4:5]
	s_cbranch_vccnz .LBB9_1269
.LBB9_1268:
	global_load_ubyte v5, v[0:1], off
	v_mov_b32_e32 v8, 0x3ff00000
	s_waitcnt vmcnt(1)
	v_mov_b32_e32 v4, 0
	s_mov_b64 s[6:7], -1
	s_waitcnt vmcnt(0)
	v_cmp_ne_u16_e32 vcc, 0, v5
	v_cndmask_b32_e32 v5, 0, v8, vcc
.LBB9_1269:
	s_branch .LBB9_1199
.LBB9_1270:
	s_and_b32 s4, 0xffff, s14
	s_cmp_lt_i32 s4, 5
	s_cbranch_scc1 .LBB9_1275
; %bb.1271:
	s_cmp_lt_i32 s4, 8
	s_cbranch_scc1 .LBB9_1276
; %bb.1272:
	;; [unrolled: 3-line block ×3, first 2 shown]
	s_cmp_gt_i32 s4, 9
	s_cbranch_scc0 .LBB9_1278
; %bb.1274:
	global_load_dwordx2 v[4:5], v[0:1], off
	s_mov_b64 s[0:1], 0
	s_branch .LBB9_1279
.LBB9_1275:
                                        ; implicit-def: $vgpr4_vgpr5
	s_branch .LBB9_1296
.LBB9_1276:
                                        ; implicit-def: $vgpr4_vgpr5
	s_branch .LBB9_1285
.LBB9_1277:
	s_mov_b64 s[0:1], -1
                                        ; implicit-def: $vgpr4_vgpr5
	s_branch .LBB9_1282
.LBB9_1278:
	s_mov_b64 s[0:1], -1
                                        ; implicit-def: $vgpr4_vgpr5
.LBB9_1279:
	s_andn2_b64 vcc, exec, s[0:1]
	s_cbranch_vccnz .LBB9_1281
; %bb.1280:
	global_load_dword v4, v[0:1], off
	s_waitcnt vmcnt(0)
	v_cvt_f64_f32_e32 v[4:5], v4
.LBB9_1281:
	s_mov_b64 s[0:1], 0
.LBB9_1282:
	s_andn2_b64 vcc, exec, s[0:1]
	s_cbranch_vccnz .LBB9_1284
; %bb.1283:
	global_load_dword v4, v[0:1], off
	s_waitcnt vmcnt(0)
	v_cvt_f32_f16_e32 v4, v4
	v_cvt_f64_f32_e32 v[4:5], v4
.LBB9_1284:
	s_cbranch_execnz .LBB9_1295
.LBB9_1285:
	s_cmp_lt_i32 s4, 6
	s_cbranch_scc1 .LBB9_1288
; %bb.1286:
	s_cmp_gt_i32 s4, 6
	s_cbranch_scc0 .LBB9_1289
; %bb.1287:
	global_load_dwordx2 v[4:5], v[0:1], off
	s_mov_b64 s[0:1], 0
	s_branch .LBB9_1290
.LBB9_1288:
	s_mov_b64 s[0:1], -1
                                        ; implicit-def: $vgpr4_vgpr5
	s_branch .LBB9_1293
.LBB9_1289:
	s_mov_b64 s[0:1], -1
                                        ; implicit-def: $vgpr4_vgpr5
.LBB9_1290:
	s_andn2_b64 vcc, exec, s[0:1]
	s_cbranch_vccnz .LBB9_1292
; %bb.1291:
	global_load_dword v4, v[0:1], off
	s_waitcnt vmcnt(0)
	v_cvt_f64_f32_e32 v[4:5], v4
.LBB9_1292:
	s_mov_b64 s[0:1], 0
.LBB9_1293:
	s_andn2_b64 vcc, exec, s[0:1]
	s_cbranch_vccnz .LBB9_1295
; %bb.1294:
	global_load_ushort v4, v[0:1], off
	s_waitcnt vmcnt(0)
	v_cvt_f32_f16_e32 v4, v4
	v_cvt_f64_f32_e32 v[4:5], v4
.LBB9_1295:
	s_cbranch_execnz .LBB9_1314
.LBB9_1296:
	s_cmp_lt_i32 s4, 2
	s_cbranch_scc1 .LBB9_1300
; %bb.1297:
	s_cmp_lt_i32 s4, 3
	s_cbranch_scc1 .LBB9_1301
; %bb.1298:
	s_cmp_gt_i32 s4, 3
	s_cbranch_scc0 .LBB9_1302
; %bb.1299:
	global_load_dwordx2 v[4:5], v[0:1], off
	s_mov_b64 s[0:1], 0
	s_waitcnt vmcnt(0)
	v_cvt_f64_i32_e32 v[11:12], v5
	v_cvt_f64_u32_e32 v[4:5], v4
	v_ldexp_f64 v[11:12], v[11:12], 32
	v_add_f64 v[4:5], v[11:12], v[4:5]
	s_branch .LBB9_1303
.LBB9_1300:
                                        ; implicit-def: $vgpr4_vgpr5
	s_branch .LBB9_1309
.LBB9_1301:
	s_mov_b64 s[0:1], -1
                                        ; implicit-def: $vgpr4_vgpr5
	s_branch .LBB9_1306
.LBB9_1302:
	s_mov_b64 s[0:1], -1
                                        ; implicit-def: $vgpr4_vgpr5
.LBB9_1303:
	s_andn2_b64 vcc, exec, s[0:1]
	s_cbranch_vccnz .LBB9_1305
; %bb.1304:
	global_load_dword v4, v[0:1], off
	s_waitcnt vmcnt(0)
	v_cvt_f64_i32_e32 v[4:5], v4
.LBB9_1305:
	s_mov_b64 s[0:1], 0
.LBB9_1306:
	s_andn2_b64 vcc, exec, s[0:1]
	s_cbranch_vccnz .LBB9_1308
; %bb.1307:
	global_load_sshort v4, v[0:1], off
	s_waitcnt vmcnt(0)
	v_cvt_f64_i32_e32 v[4:5], v4
.LBB9_1308:
	s_cbranch_execnz .LBB9_1314
.LBB9_1309:
	s_cmp_gt_i32 s4, 0
	s_cbranch_scc0 .LBB9_1311
; %bb.1310:
	global_load_sbyte v4, v[0:1], off
	s_mov_b64 s[0:1], 0
	s_waitcnt vmcnt(0)
	v_cvt_f64_i32_e32 v[4:5], v4
	s_branch .LBB9_1312
.LBB9_1311:
	s_mov_b64 s[0:1], -1
                                        ; implicit-def: $vgpr4_vgpr5
.LBB9_1312:
	s_andn2_b64 vcc, exec, s[0:1]
	s_cbranch_vccnz .LBB9_1314
; %bb.1313:
	global_load_ubyte v0, v[0:1], off
	s_waitcnt vmcnt(0)
	v_cvt_f64_u32_e32 v[4:5], v0
.LBB9_1314:
.LBB9_1315:
	s_mov_b32 s0, 0
	s_mov_b32 s1, 0x40200000
	s_waitcnt vmcnt(0)
	v_cmp_le_f64_e64 s[0:1], |v[4:5]|, s[0:1]
                                        ; implicit-def: $vgpr0_vgpr1
	s_and_saveexec_b64 s[4:5], s[0:1]
	s_xor_b64 s[0:1], exec, s[4:5]
	s_cbranch_execz .LBB9_1321
; %bb.1316:
	v_fma_f64 v[0:1], |v[4:5]|, 0.5, -2.0
	v_mov_b32_e32 v11, 0xc38a0576
	v_mov_b32_e32 v12, 0xbc7857d0
	s_mov_b32 s5, 0x3c499f2a
	s_mov_b32 s4, 0xc3c4014
	;; [unrolled: 1-line block ×4, first 2 shown]
	v_mov_b32_e32 v21, 0xfca7ab0c
	v_fma_f64 v[11:12], v[0:1], s[4:5], v[11:12]
	s_mov_b32 s5, 0xbc499f2a
	v_mov_b32_e32 v22, 0x3e928af3
	v_cmp_ngt_f64_e32 vcc, 0, v[4:5]
	v_fma_f64 v[15:16], v[0:1], v[11:12], s[4:5]
	s_mov_b32 s4, 0xe593bfac
	s_mov_b32 s5, 0x3ca663e3
	v_add_f64 v[15:16], v[15:16], s[4:5]
	s_mov_b32 s4, 0x7e0d1573
	s_mov_b32 s5, 0xbcd3eaaa
	v_fma_f64 v[11:12], v[0:1], v[15:16], -v[11:12]
	v_add_f64 v[11:12], v[11:12], s[4:5]
	s_mov_b32 s4, 0x615290c
	s_mov_b32 s5, 0x3d011d7f
	v_fma_f64 v[15:16], v[0:1], v[11:12], -v[15:16]
	v_add_f64 v[15:16], v[15:16], s[4:5]
	s_mov_b32 s4, 0x1c8f0b3b
	s_mov_b32 s5, 0xbd2c628e
	v_fma_f64 v[11:12], v[0:1], v[15:16], -v[11:12]
	v_add_f64 v[11:12], v[11:12], s[4:5]
	s_mov_b32 s4, 0x4779d955
	s_mov_b32 s5, 0x3d56af78
	v_fma_f64 v[15:16], v[0:1], v[11:12], -v[15:16]
	v_add_f64 v[15:16], v[15:16], s[4:5]
	s_mov_b32 s4, 0x5fb70366
	s_mov_b32 s5, 0xbd817383
	v_fma_f64 v[11:12], v[0:1], v[15:16], -v[11:12]
	v_add_f64 v[11:12], v[11:12], s[4:5]
	s_mov_b32 s4, 0xb21d3154
	s_mov_b32 s5, 0x3da9cee2
	v_fma_f64 v[15:16], v[0:1], v[11:12], -v[15:16]
	v_add_f64 v[15:16], v[15:16], s[4:5]
	s_mov_b32 s4, 0x97eb07de
	s_mov_b32 s5, 0xbdd25103
	v_fma_f64 v[11:12], v[0:1], v[15:16], -v[11:12]
	v_add_f64 v[11:12], v[11:12], s[4:5]
	s_mov_b32 s4, 0xb43fdf6c
	s_mov_b32 s5, 0x3df8ea34
	v_fma_f64 v[15:16], v[0:1], v[11:12], -v[15:16]
	v_add_f64 v[15:16], v[15:16], s[4:5]
	s_mov_b32 s4, 0x28ea67e6
	s_mov_b32 s5, 0xbe20361b
	v_fma_f64 v[11:12], v[0:1], v[15:16], -v[11:12]
	v_add_f64 v[11:12], v[11:12], s[4:5]
	s_mov_b32 s4, 0x2395010
	s_mov_b32 s5, 0x3e44258e
	v_fma_f64 v[15:16], v[0:1], v[11:12], -v[15:16]
	v_add_f64 v[15:16], v[15:16], s[4:5]
	s_mov_b32 s4, 0x24b8c3e8
	s_mov_b32 s5, 0xbe67dd3e
	v_fma_f64 v[11:12], v[0:1], v[15:16], -v[11:12]
	v_add_f64 v[11:12], v[11:12], s[4:5]
	s_mov_b32 s4, 0xb347d108
	s_mov_b32 s5, 0x3e8ae344
	v_fma_f64 v[15:16], v[0:1], v[11:12], -v[15:16]
	v_add_f64 v[15:16], v[15:16], s[4:5]
	s_mov_b32 s4, 0x8363992a
	s_mov_b32 s5, 0xbeacc079
	v_fma_f64 v[11:12], v[0:1], v[15:16], -v[11:12]
	v_add_f64 v[11:12], v[11:12], s[4:5]
	s_mov_b32 s4, 0xd511afc5
	s_mov_b32 s5, 0x3ecd1c4e
	v_fma_f64 v[15:16], v[0:1], v[11:12], -v[15:16]
	v_add_f64 v[15:16], v[15:16], s[4:5]
	s_mov_b32 s4, 0xb8debbcf
	s_mov_b32 s5, 0xbeebd5f9
	v_fma_f64 v[11:12], v[0:1], v[15:16], -v[11:12]
	v_add_f64 v[11:12], v[11:12], s[4:5]
	s_mov_b32 s4, 0x42c70d0b
	s_mov_b32 s5, 0x3f0911b5
	v_fma_f64 v[15:16], v[0:1], v[11:12], -v[15:16]
	v_add_f64 v[15:16], v[15:16], s[4:5]
	s_mov_b32 s4, 0xd3d694fe
	s_mov_b32 s5, 0xbf2533ca
	v_fma_f64 v[11:12], v[0:1], v[15:16], -v[11:12]
	v_add_f64 v[11:12], v[11:12], s[4:5]
	s_mov_b32 s4, 0xb6c6df7d
	s_mov_b32 s5, 0x3f40c95d
	v_fma_f64 v[15:16], v[0:1], v[11:12], -v[15:16]
	v_add_f64 v[15:16], v[15:16], s[4:5]
	s_mov_b32 s4, 0xb3cd4a4
	s_mov_b32 s5, 0xbf58cc62
	v_fma_f64 v[11:12], v[0:1], v[15:16], -v[11:12]
	v_add_f64 v[11:12], v[11:12], s[4:5]
	s_mov_b32 s4, 0x49d3a1b4
	s_mov_b32 s5, 0x3f710653
	v_fma_f64 v[15:16], v[0:1], v[11:12], -v[15:16]
	v_add_f64 v[15:16], v[15:16], s[4:5]
	s_mov_b32 s4, 0x652b82fe
	s_mov_b32 s5, 0x3ff71547
	v_mul_f64 v[17:18], |v[4:5]|, s[4:5]
	s_mov_b32 s4, 0x7913a26a
	s_mov_b32 s5, 0xbf85a29f
	v_fma_f64 v[11:12], v[0:1], v[15:16], -v[11:12]
	v_rndne_f64_e32 v[17:18], v[17:18]
	v_add_f64 v[11:12], v[11:12], s[4:5]
	s_mov_b32 s4, 0xfefa39ef
	s_mov_b32 s5, 0xbfe62e42
	v_fma_f64 v[19:20], v[17:18], s[4:5], |v[4:5]|
	s_mov_b32 s4, 0xe7bb2349
	s_mov_b32 s5, 0x3f9951e3
	v_cvt_i32_f64_e32 v8, v[17:18]
	v_fma_f64 v[15:16], v[0:1], v[11:12], -v[15:16]
	v_fma_f64 v[19:20], v[17:18], s[6:7], v[19:20]
	s_mov_b32 s6, 0x623fde64
	s_mov_b32 s7, 0x3ec71dee
	v_add_f64 v[15:16], v[15:16], s[4:5]
	s_mov_b32 s4, 0x6a5dcb37
	s_mov_b32 s5, 0x3e5ade15
	v_fma_f64 v[21:22], v[19:20], s[4:5], v[21:22]
	s_mov_b32 s4, 0x537c9ebc
	s_mov_b32 s5, 0xbfab1bbc
	v_fma_f64 v[11:12], v[0:1], v[15:16], -v[11:12]
	v_fma_f64 v[21:22], v[19:20], v[21:22], s[6:7]
	s_mov_b32 s6, 0x14761f6e
	s_mov_b32 s7, 0x3f2a01a0
	v_add_f64 v[11:12], v[11:12], s[4:5]
	s_mov_b32 s4, 0x7c89e6b0
	s_mov_b32 s5, 0x3efa0199
	v_fma_f64 v[21:22], v[19:20], v[21:22], s[4:5]
	s_mov_b32 s4, 0xd536f53c
	s_mov_b32 s5, 0x3fba46da
	;; [unrolled: 10-line block ×3, first 2 shown]
	v_fma_f64 v[11:12], v[0:1], v[15:16], -v[11:12]
	v_fma_f64 v[21:22], v[19:20], v[21:22], s[6:7]
	s_mov_b32 s6, 0x55555511
	s_mov_b32 s7, 0x3fc55555
	v_add_f64 v[11:12], v[11:12], s[4:5]
	s_mov_b32 s4, 0x555502a1
	s_mov_b32 s5, 0x3fa55555
	v_fma_f64 v[0:1], v[0:1], v[11:12], -v[15:16]
	v_fma_f64 v[11:12], v[19:20], v[21:22], s[4:5]
	s_mov_b32 s4, 0x724a7ffa
	s_mov_b32 s5, 0x3fd02a63
	v_add_f64 v[0:1], v[0:1], s[4:5]
	v_fma_f64 v[11:12], v[19:20], v[11:12], s[6:7]
	s_mov_b32 s4, 11
	s_mov_b32 s5, 0x3fe00000
	v_add_f64 v[0:1], v[0:1], -v[15:16]
	v_fma_f64 v[11:12], v[19:20], v[11:12], s[4:5]
	v_mul_f64 v[0:1], v[0:1], 0.5
	v_fma_f64 v[15:16], v[19:20], v[11:12], 1.0
	v_mul_f64 v[11:12], |v[4:5]|, v[0:1]
	v_fma_f64 v[15:16], v[19:20], v[15:16], 1.0
                                        ; implicit-def: $vgpr0_vgpr1
	s_and_saveexec_b64 s[4:5], vcc
	s_xor_b64 s[4:5], exec, s[4:5]
	s_cbranch_execz .LBB9_1318
; %bb.1317:
	s_mov_b32 s6, 0
	s_mov_b32 s7, 0x40900000
	v_ldexp_f64 v[0:1], v[15:16], v8
	v_cmp_ngt_f64_e64 vcc, |v[4:5]|, s[6:7]
	v_mov_b32_e32 v8, 0x7ff00000
                                        ; implicit-def: $vgpr15_vgpr16
                                        ; implicit-def: $vgpr4_vgpr5
	v_cndmask_b32_e32 v1, v8, v1, vcc
	v_cndmask_b32_e32 v0, 0, v0, vcc
	v_mul_f64 v[0:1], v[0:1], v[11:12]
                                        ; implicit-def: $vgpr8
                                        ; implicit-def: $vgpr11_vgpr12
.LBB9_1318:
	s_andn2_saveexec_b64 s[4:5], s[4:5]
	s_cbranch_execz .LBB9_1320
; %bb.1319:
	s_mov_b32 s6, 0
	s_mov_b32 s7, 0x40900000
	v_ldexp_f64 v[0:1], -v[15:16], v8
	v_cmp_ngt_f64_e64 vcc, |v[4:5]|, s[6:7]
	v_mov_b32_e32 v8, 0xfff00000
	v_cndmask_b32_e32 v1, v8, v1, vcc
	v_cndmask_b32_e32 v0, 0, v0, vcc
	v_mul_f64 v[0:1], v[0:1], v[11:12]
.LBB9_1320:
	s_or_b64 exec, exec, s[4:5]
                                        ; implicit-def: $vgpr4_vgpr5
.LBB9_1321:
	s_andn2_saveexec_b64 s[4:5], s[0:1]
	s_cbranch_execz .LBB9_1327
; %bb.1322:
	s_mov_b32 s0, 0
	v_and_b32_e32 v1, 0x7fffffff, v5
	v_mov_b32_e32 v0, v4
	s_mov_b32 s1, 0x40400000
	v_div_scale_f64 v[11:12], s[6:7], v[0:1], v[0:1], s[0:1]
	v_div_scale_f64 v[0:1], vcc, s[0:1], v[0:1], s[0:1]
	v_mov_b32_e32 v21, 0xfca7ab0c
	v_mov_b32_e32 v22, 0x3e928af3
	v_rcp_f64_e32 v[15:16], v[11:12]
	v_fma_f64 v[17:18], -v[11:12], v[15:16], 1.0
	v_fma_f64 v[15:16], v[15:16], v[17:18], v[15:16]
	v_fma_f64 v[17:18], -v[11:12], v[15:16], 1.0
	v_fma_f64 v[15:16], v[15:16], v[17:18], v[15:16]
	v_mul_f64 v[17:18], v[0:1], v[15:16]
	v_fma_f64 v[0:1], -v[11:12], v[17:18], v[0:1]
	v_mov_b32_e32 v11, 0xea87b950
	v_mov_b32_e32 v12, 0x3c545b8a
	v_div_fmas_f64 v[0:1], v[0:1], v[15:16], v[17:18]
	v_cmp_ngt_f64_e32 vcc, 0, v[4:5]
	v_div_fixup_f64 v[0:1], v[0:1], |v[4:5]|, s[0:1]
	s_mov_b32 s1, 0x3c61556d
	s_mov_b32 s0, 0xb352e8e6
	v_add_f64 v[0:1], v[0:1], -2.0
	v_fma_f64 v[11:12], v[0:1], s[0:1], v[11:12]
	s_mov_b32 s1, 0xbc61556d
	v_fma_f64 v[15:16], v[0:1], v[11:12], s[0:1]
	s_mov_b32 s0, 0xb2532277
	s_mov_b32 s1, 0xbc8acea3
	v_add_f64 v[15:16], v[15:16], s[0:1]
	s_mov_b32 s0, 0x9c773320
	s_mov_b32 s1, 0xbc82806c
	v_fma_f64 v[11:12], v[0:1], v[15:16], -v[11:12]
	v_add_f64 v[11:12], v[11:12], s[0:1]
	s_mov_b32 s0, 0xfceb588a
	s_mov_b32 s1, 0x3cb55915
	v_fma_f64 v[15:16], v[0:1], v[11:12], -v[15:16]
	;; [unrolled: 4-line block ×14, first 2 shown]
	v_add_f64 v[15:16], v[15:16], s[0:1]
	s_mov_b32 s0, 0x652b82fe
	s_mov_b32 s1, 0x3ff71547
	v_mul_f64 v[17:18], |v[4:5]|, s[0:1]
	s_mov_b32 s0, 0x5423dd80
	s_mov_b32 s1, 0xbe0334ca
	v_fma_f64 v[11:12], v[0:1], v[15:16], -v[11:12]
	v_rndne_f64_e32 v[17:18], v[17:18]
	v_add_f64 v[11:12], v[11:12], s[0:1]
	s_mov_b32 s0, 0xfefa39ef
	s_mov_b32 s1, 0xbfe62e42
	v_fma_f64 v[19:20], v[17:18], s[0:1], |v[4:5]|
	s_mov_b32 s0, 0x9ad53528
	s_mov_b32 s1, 0xbe30790b
	v_cvt_i32_f64_e32 v8, v[17:18]
	v_fma_f64 v[15:16], v[0:1], v[11:12], -v[15:16]
	v_add_f64 v[15:16], v[15:16], s[0:1]
	s_mov_b32 s0, 0x3b39803f
	s_mov_b32 s1, 0xbc7abc9e
	v_fma_f64 v[19:20], v[17:18], s[0:1], v[19:20]
	s_mov_b32 s0, 0x6a5dcb37
	s_mov_b32 s1, 0x3e5ade15
	v_fma_f64 v[11:12], v[0:1], v[15:16], -v[11:12]
	v_fma_f64 v[21:22], v[19:20], s[0:1], v[21:22]
	s_mov_b32 s0, 0x94bb46c1
	s_mov_b32 s1, 0xbe5c4153
	v_add_f64 v[11:12], v[11:12], s[0:1]
	s_mov_b32 s0, 0x623fde64
	s_mov_b32 s1, 0x3ec71dee
	v_fma_f64 v[21:22], v[19:20], v[21:22], s[0:1]
	s_mov_b32 s0, 0x7c89e6b0
	s_mov_b32 s1, 0x3efa0199
	v_fma_f64 v[15:16], v[0:1], v[11:12], -v[15:16]
	v_fma_f64 v[21:22], v[19:20], v[21:22], s[0:1]
	s_mov_b32 s0, 0x2e9e5443
	s_mov_b32 s1, 0xbe90dbfd
	;; [unrolled: 10-line block ×5, first 2 shown]
	v_add_f64 v[11:12], v[11:12], s[0:1]
	s_mov_b32 s0, 0xb55b1514
	s_mov_b32 s1, 0x3fe8ea18
	v_fma_f64 v[21:22], v[19:20], v[21:22], 1.0
	v_fma_f64 v[0:1], v[0:1], v[11:12], -v[15:16]
	v_fma_f64 v[11:12], v[19:20], v[21:22], 1.0
	v_add_f64 v[0:1], v[0:1], s[0:1]
	s_mov_b32 s0, 0
	s_mov_b32 s1, 0x40900000
	v_ldexp_f64 v[11:12], v[11:12], v8
	v_cmp_ngt_f64_e64 s[0:1], |v[4:5]|, s[0:1]
	v_mov_b32_e32 v8, 0x7ff00000
	v_add_f64 v[15:16], v[0:1], -v[15:16]
                                        ; implicit-def: $vgpr0_vgpr1
	v_cndmask_b32_e64 v12, v8, v12, s[0:1]
	v_cndmask_b32_e64 v11, 0, v11, s[0:1]
	s_and_saveexec_b64 s[0:1], vcc
	s_xor_b64 s[0:1], exec, s[0:1]
	s_cbranch_execz .LBB9_1324
; %bb.1323:
	s_mov_b32 s6, 0
	s_brev_b32 s7, 8
	v_cmp_lt_f64_e64 vcc, |v[4:5]|, s[6:7]
	v_mov_b32_e32 v0, 0x100
	v_mul_f64 v[15:16], v[15:16], 0.5
	v_mov_b32_e32 v8, 0xffffff80
	v_mov_b32_e32 v13, 0x260
	v_cndmask_b32_e32 v0, 0, v0, vcc
	v_ldexp_f64 v[0:1], |v[4:5]|, v0
	v_cndmask_b32_e32 v8, 0, v8, vcc
	v_mul_f64 v[11:12], v[11:12], v[15:16]
	v_rsq_f64_e32 v[4:5], v[0:1]
	v_cmp_class_f64_e32 vcc, v[0:1], v13
	v_mul_f64 v[17:18], v[0:1], v[4:5]
	v_mul_f64 v[4:5], v[4:5], 0.5
	v_fma_f64 v[19:20], -v[4:5], v[17:18], 0.5
	v_fma_f64 v[17:18], v[17:18], v[19:20], v[17:18]
	v_fma_f64 v[4:5], v[4:5], v[19:20], v[4:5]
	v_fma_f64 v[19:20], -v[17:18], v[17:18], v[0:1]
	v_fma_f64 v[17:18], v[19:20], v[4:5], v[17:18]
	v_fma_f64 v[19:20], -v[17:18], v[17:18], v[0:1]
	v_fma_f64 v[4:5], v[19:20], v[4:5], v[17:18]
	v_ldexp_f64 v[4:5], v[4:5], v8
	v_cndmask_b32_e32 v1, v5, v1, vcc
	v_cndmask_b32_e32 v0, v4, v0, vcc
	v_div_scale_f64 v[4:5], s[6:7], v[0:1], v[0:1], v[11:12]
	v_div_scale_f64 v[19:20], vcc, v[11:12], v[0:1], v[11:12]
	v_rcp_f64_e32 v[15:16], v[4:5]
	v_fma_f64 v[17:18], -v[4:5], v[15:16], 1.0
	v_fma_f64 v[15:16], v[15:16], v[17:18], v[15:16]
	v_fma_f64 v[17:18], -v[4:5], v[15:16], 1.0
	v_fma_f64 v[15:16], v[15:16], v[17:18], v[15:16]
	v_mul_f64 v[17:18], v[19:20], v[15:16]
	v_fma_f64 v[4:5], -v[4:5], v[17:18], v[19:20]
	v_div_fmas_f64 v[4:5], v[4:5], v[15:16], v[17:18]
                                        ; implicit-def: $vgpr15_vgpr16
	v_div_fixup_f64 v[0:1], v[4:5], v[0:1], v[11:12]
                                        ; implicit-def: $vgpr4_vgpr5
                                        ; implicit-def: $vgpr11_vgpr12
.LBB9_1324:
	s_andn2_saveexec_b64 s[0:1], s[0:1]
	s_cbranch_execz .LBB9_1326
; %bb.1325:
	s_mov_b32 s6, 0
	s_brev_b32 s7, 8
	v_cmp_lt_f64_e64 vcc, |v[4:5]|, s[6:7]
	v_mov_b32_e32 v0, 0x100
	v_mul_f64 v[15:16], v[15:16], -0.5
	v_mov_b32_e32 v8, 0xffffff80
	v_mov_b32_e32 v13, 0x260
	v_cndmask_b32_e32 v0, 0, v0, vcc
	v_ldexp_f64 v[0:1], |v[4:5]|, v0
	v_cndmask_b32_e32 v8, 0, v8, vcc
	v_mul_f64 v[11:12], v[11:12], v[15:16]
	v_rsq_f64_e32 v[4:5], v[0:1]
	v_cmp_class_f64_e32 vcc, v[0:1], v13
	v_mul_f64 v[17:18], v[0:1], v[4:5]
	v_mul_f64 v[4:5], v[4:5], 0.5
	v_fma_f64 v[19:20], -v[4:5], v[17:18], 0.5
	v_fma_f64 v[17:18], v[17:18], v[19:20], v[17:18]
	v_fma_f64 v[4:5], v[4:5], v[19:20], v[4:5]
	v_fma_f64 v[19:20], -v[17:18], v[17:18], v[0:1]
	v_fma_f64 v[17:18], v[19:20], v[4:5], v[17:18]
	v_fma_f64 v[19:20], -v[17:18], v[17:18], v[0:1]
	v_fma_f64 v[4:5], v[19:20], v[4:5], v[17:18]
	v_ldexp_f64 v[4:5], v[4:5], v8
	v_cndmask_b32_e32 v1, v5, v1, vcc
	v_cndmask_b32_e32 v0, v4, v0, vcc
	v_div_scale_f64 v[4:5], s[6:7], v[0:1], v[0:1], v[11:12]
	v_div_scale_f64 v[19:20], vcc, v[11:12], v[0:1], v[11:12]
	v_rcp_f64_e32 v[15:16], v[4:5]
	v_fma_f64 v[17:18], -v[4:5], v[15:16], 1.0
	v_fma_f64 v[15:16], v[15:16], v[17:18], v[15:16]
	v_fma_f64 v[17:18], -v[4:5], v[15:16], 1.0
	v_fma_f64 v[15:16], v[15:16], v[17:18], v[15:16]
	v_mul_f64 v[17:18], v[19:20], v[15:16]
	v_fma_f64 v[4:5], -v[4:5], v[17:18], v[19:20]
	v_div_fmas_f64 v[4:5], v[4:5], v[15:16], v[17:18]
	v_div_fixup_f64 v[0:1], v[4:5], v[0:1], v[11:12]
.LBB9_1326:
	s_or_b64 exec, exec, s[0:1]
.LBB9_1327:
	s_or_b64 exec, exec, s[4:5]
	s_lshr_b32 s0, s16, 16
	v_mov_b32_e32 v5, s11
	s_and_b32 s17, s0, 0xff
	v_add_co_u32_e32 v4, vcc, s10, v9
	s_cmp_lt_i32 s17, 11
	v_addc_co_u32_e32 v5, vcc, 0, v5, vcc
	s_cbranch_scc1 .LBB9_1334
; %bb.1328:
	s_and_b32 s18, 0xffff, s17
	s_cmp_gt_i32 s18, 25
	s_mov_b64 s[4:5], 0
	s_cbranch_scc0 .LBB9_1336
; %bb.1329:
	s_cmp_gt_i32 s18, 28
	s_cbranch_scc0 .LBB9_1337
; %bb.1330:
	s_cmp_gt_i32 s18, 43
	;; [unrolled: 3-line block ×3, first 2 shown]
	s_cbranch_scc0 .LBB9_1340
; %bb.1332:
	s_cmp_eq_u32 s18, 46
	s_mov_b64 s[12:13], 0
	s_cbranch_scc0 .LBB9_1343
; %bb.1333:
	global_load_dword v8, v[4:5], off
	s_mov_b64 s[0:1], 0
	s_mov_b64 s[6:7], -1
	s_waitcnt vmcnt(0)
	v_lshlrev_b32_e32 v8, 16, v8
	v_cvt_f64_f32_e32 v[8:9], v8
	s_branch .LBB9_1344
.LBB9_1334:
	s_mov_b64 s[6:7], 0
                                        ; implicit-def: $vgpr8_vgpr9
	s_cbranch_execnz .LBB9_1409
.LBB9_1335:
	s_andn2_b64 vcc, exec, s[6:7]
	s_cbranch_vccnz .LBB9_1829
	s_branch .LBB9_1456
.LBB9_1336:
	s_mov_b64 s[6:7], 0
	s_mov_b64 s[0:1], 0
                                        ; implicit-def: $vgpr8_vgpr9
	s_cbranch_execnz .LBB9_1375
	s_branch .LBB9_1405
.LBB9_1337:
	s_mov_b64 s[12:13], -1
	s_mov_b64 s[6:7], 0
	s_mov_b64 s[0:1], 0
                                        ; implicit-def: $vgpr8_vgpr9
	s_branch .LBB9_1354
.LBB9_1338:
	s_mov_b64 s[12:13], -1
	s_mov_b64 s[6:7], 0
	s_mov_b64 s[0:1], 0
                                        ; implicit-def: $vgpr8_vgpr9
	s_branch .LBB9_1349
.LBB9_1339:
	s_or_b64 s[2:3], s[28:29], exec
	s_trap 2
	s_cbranch_execz .LBB9_1268
	s_branch .LBB9_1269
.LBB9_1340:
	s_mov_b64 s[12:13], -1
	s_mov_b64 s[6:7], 0
	s_mov_b64 s[0:1], 0
                                        ; implicit-def: $vgpr8_vgpr9
	s_branch .LBB9_1344
.LBB9_1341:
	s_andn2_saveexec_b64 s[16:17], s[16:17]
	s_cbranch_execz .LBB9_1059
.LBB9_1342:
	s_mov_b32 s20, 0x42800000
	v_add_f32_e64 v3, |v2|, s20
	v_and_b32_e32 v3, 0xff, v3
	v_cmp_ne_u32_e32 vcc, 0, v3
	s_andn2_b64 s[14:15], s[14:15], exec
	s_and_b64 s[20:21], vcc, exec
	s_or_b64 s[14:15], s[14:15], s[20:21]
	s_or_b64 exec, exec, s[16:17]
	v_mov_b32_e32 v4, 0
	s_and_saveexec_b64 s[16:17], s[14:15]
	s_cbranch_execnz .LBB9_1060
	s_branch .LBB9_1061
.LBB9_1343:
	s_mov_b64 s[0:1], -1
                                        ; implicit-def: $vgpr8_vgpr9
	s_mov_b64 s[6:7], 0
.LBB9_1344:
	s_and_b64 vcc, exec, s[12:13]
	s_cbranch_vccz .LBB9_1348
; %bb.1345:
	s_cmp_eq_u32 s18, 44
	s_cbranch_scc0 .LBB9_1347
; %bb.1346:
	global_load_ubyte v11, v[4:5], off
	s_movk_i32 s6, 0xff
	v_bfrev_b32_e32 v12, 4
	v_mov_b32_e32 v13, 0x7ff80000
	v_bfrev_b32_e32 v15, 28
	s_mov_b64 s[0:1], 0
	s_waitcnt vmcnt(0)
	v_lshlrev_b32_e32 v8, 23, v11
	v_cvt_f64_f32_e32 v[8:9], v8
	v_cmp_ne_u32_e32 vcc, s6, v11
	s_mov_b64 s[6:7], -1
	v_cndmask_b32_e32 v8, v12, v8, vcc
	v_cndmask_b32_e32 v9, v13, v9, vcc
	v_cmp_ne_u32_e32 vcc, 0, v11
	v_cndmask_b32_e32 v9, v15, v9, vcc
	v_cndmask_b32_e32 v8, 0, v8, vcc
	s_branch .LBB9_1348
.LBB9_1347:
	s_mov_b64 s[0:1], -1
                                        ; implicit-def: $vgpr8_vgpr9
.LBB9_1348:
	s_mov_b64 s[12:13], 0
.LBB9_1349:
	s_and_b64 vcc, exec, s[12:13]
	s_cbranch_vccz .LBB9_1353
; %bb.1350:
	s_cmp_eq_u32 s18, 29
	s_cbranch_scc0 .LBB9_1352
; %bb.1351:
	global_load_dwordx2 v[8:9], v[4:5], off
	s_mov_b64 s[0:1], 0
	s_mov_b64 s[6:7], -1
	s_mov_b64 s[12:13], 0
	s_waitcnt vmcnt(0)
	v_cvt_f64_u32_e32 v[11:12], v9
	v_cvt_f64_u32_e32 v[8:9], v8
	v_ldexp_f64 v[11:12], v[11:12], 32
	v_add_f64 v[8:9], v[11:12], v[8:9]
	s_branch .LBB9_1354
.LBB9_1352:
	s_mov_b64 s[0:1], -1
                                        ; implicit-def: $vgpr8_vgpr9
.LBB9_1353:
	s_mov_b64 s[12:13], 0
.LBB9_1354:
	s_and_b64 vcc, exec, s[12:13]
	s_cbranch_vccz .LBB9_1374
; %bb.1355:
	s_cmp_lt_i32 s18, 27
	s_cbranch_scc1 .LBB9_1358
; %bb.1356:
	s_cmp_gt_i32 s18, 27
	s_cbranch_scc0 .LBB9_1359
; %bb.1357:
	global_load_dword v8, v[4:5], off
	s_mov_b64 s[6:7], 0
	s_waitcnt vmcnt(0)
	v_cvt_f64_u32_e32 v[8:9], v8
	s_branch .LBB9_1360
.LBB9_1358:
	s_mov_b64 s[6:7], -1
                                        ; implicit-def: $vgpr8_vgpr9
	s_branch .LBB9_1363
.LBB9_1359:
	s_mov_b64 s[6:7], -1
                                        ; implicit-def: $vgpr8_vgpr9
.LBB9_1360:
	s_andn2_b64 vcc, exec, s[6:7]
	s_cbranch_vccnz .LBB9_1362
; %bb.1361:
	global_load_ushort v8, v[4:5], off
	s_waitcnt vmcnt(0)
	v_cvt_f64_u32_e32 v[8:9], v8
.LBB9_1362:
	s_mov_b64 s[6:7], 0
.LBB9_1363:
	s_andn2_b64 vcc, exec, s[6:7]
	s_cbranch_vccnz .LBB9_1373
; %bb.1364:
	global_load_ubyte v11, v[4:5], off
	s_movk_i32 s6, 0x7f
	s_waitcnt vmcnt(0)
	v_cmp_lt_i16_e32 vcc, s6, v11
	s_mov_b64 s[6:7], 0
	s_and_saveexec_b64 s[12:13], vcc
	s_xor_b64 s[12:13], exec, s[12:13]
	s_cbranch_execz .LBB9_1368
; %bb.1365:
	s_movk_i32 s6, 0x80
	v_cmp_eq_u16_e32 vcc, s6, v11
	s_mov_b64 s[6:7], -1
	s_and_saveexec_b64 s[14:15], vcc
; %bb.1366:
	s_xor_b64 s[6:7], exec, -1
; %bb.1367:
	s_or_b64 exec, exec, s[14:15]
	s_and_b64 s[6:7], s[6:7], exec
.LBB9_1368:
	s_or_saveexec_b64 s[12:13], s[12:13]
	v_bfrev_b32_e32 v8, 4
	v_mov_b32_e32 v9, 0x7ff80000
	s_xor_b64 exec, exec, s[12:13]
; %bb.1369:
	v_cmp_ne_u16_e32 vcc, 0, v11
	v_mov_b32_e32 v8, 0
	s_andn2_b64 s[6:7], s[6:7], exec
	s_and_b64 s[14:15], vcc, exec
	v_mov_b32_e32 v9, 0
	s_or_b64 s[6:7], s[6:7], s[14:15]
; %bb.1370:
	s_or_b64 exec, exec, s[12:13]
	s_and_saveexec_b64 s[12:13], s[6:7]
	s_cbranch_execz .LBB9_1372
; %bb.1371:
	v_and_b32_e32 v9, 0xffff, v11
	v_lshlrev_b32_e32 v8, 24, v11
	v_and_b32_e32 v11, 7, v9
	v_ffbh_u32_e32 v13, v11
	v_min_u32_e32 v13, 32, v13
	v_subrev_u32_e32 v15, 28, v13
	v_bfe_u32 v12, v9, 3, 4
	v_lshlrev_b32_e32 v9, v15, v9
	v_sub_u32_e32 v13, 29, v13
	v_and_b32_e32 v9, 7, v9
	v_cmp_eq_u32_e32 vcc, 0, v12
	v_cndmask_b32_e32 v12, v12, v13, vcc
	v_cndmask_b32_e32 v9, v11, v9, vcc
	v_mov_b32_e32 v11, 0x3b800000
	v_lshlrev_b32_e32 v9, 20, v9
	v_and_b32_e32 v8, 0x80000000, v8
	v_lshl_add_u32 v11, v12, 23, v11
	v_or3_b32 v8, v8, v11, v9
	v_cvt_f64_f32_e32 v[8:9], v8
.LBB9_1372:
	s_or_b64 exec, exec, s[12:13]
.LBB9_1373:
	s_mov_b64 s[6:7], -1
.LBB9_1374:
	s_branch .LBB9_1405
.LBB9_1375:
	s_cmp_gt_i32 s18, 22
	s_cbranch_scc0 .LBB9_1387
; %bb.1376:
	s_cmp_lt_i32 s18, 24
	s_cbranch_scc1 .LBB9_1388
; %bb.1377:
	s_cmp_gt_i32 s18, 24
	s_cbranch_scc0 .LBB9_1389
; %bb.1378:
	global_load_ubyte v11, v[4:5], off
	s_movk_i32 s4, 0x7f
	s_waitcnt vmcnt(0)
	v_cmp_lt_i16_e32 vcc, s4, v11
	s_mov_b64 s[4:5], 0
	s_and_saveexec_b64 s[6:7], vcc
	s_xor_b64 s[6:7], exec, s[6:7]
	s_cbranch_execz .LBB9_1382
; %bb.1379:
	s_movk_i32 s4, 0x80
	v_cmp_eq_u16_e32 vcc, s4, v11
	s_mov_b64 s[4:5], -1
	s_and_saveexec_b64 s[12:13], vcc
; %bb.1380:
	s_xor_b64 s[4:5], exec, -1
; %bb.1381:
	s_or_b64 exec, exec, s[12:13]
	s_and_b64 s[4:5], s[4:5], exec
.LBB9_1382:
	s_or_saveexec_b64 s[6:7], s[6:7]
	v_bfrev_b32_e32 v8, 4
	v_mov_b32_e32 v9, 0x7ff80000
	s_xor_b64 exec, exec, s[6:7]
; %bb.1383:
	v_cmp_ne_u16_e32 vcc, 0, v11
	v_mov_b32_e32 v8, 0
	s_andn2_b64 s[4:5], s[4:5], exec
	s_and_b64 s[12:13], vcc, exec
	v_mov_b32_e32 v9, 0
	s_or_b64 s[4:5], s[4:5], s[12:13]
; %bb.1384:
	s_or_b64 exec, exec, s[6:7]
	s_and_saveexec_b64 s[6:7], s[4:5]
	s_cbranch_execz .LBB9_1386
; %bb.1385:
	v_and_b32_e32 v9, 0xffff, v11
	v_lshlrev_b32_e32 v8, 24, v11
	v_and_b32_e32 v11, 3, v9
	v_ffbh_u32_e32 v13, v11
	v_min_u32_e32 v13, 32, v13
	v_subrev_u32_e32 v15, 29, v13
	v_bfe_u32 v12, v9, 2, 5
	v_lshlrev_b32_e32 v9, v15, v9
	v_sub_u32_e32 v13, 30, v13
	v_and_b32_e32 v9, 3, v9
	v_cmp_eq_u32_e32 vcc, 0, v12
	v_cndmask_b32_e32 v12, v12, v13, vcc
	v_cndmask_b32_e32 v9, v11, v9, vcc
	v_mov_b32_e32 v11, 0x37800000
	v_lshlrev_b32_e32 v9, 21, v9
	v_and_b32_e32 v8, 0x80000000, v8
	v_lshl_add_u32 v11, v12, 23, v11
	v_or3_b32 v8, v8, v11, v9
	v_cvt_f64_f32_e32 v[8:9], v8
.LBB9_1386:
	s_or_b64 exec, exec, s[6:7]
	s_mov_b64 s[4:5], 0
	s_branch .LBB9_1390
.LBB9_1387:
	s_mov_b64 s[4:5], -1
                                        ; implicit-def: $vgpr8_vgpr9
	s_branch .LBB9_1396
.LBB9_1388:
	s_mov_b64 s[4:5], -1
                                        ; implicit-def: $vgpr8_vgpr9
	s_branch .LBB9_1393
.LBB9_1389:
	s_mov_b64 s[4:5], -1
                                        ; implicit-def: $vgpr8_vgpr9
.LBB9_1390:
	s_and_b64 vcc, exec, s[4:5]
	s_cbranch_vccz .LBB9_1392
; %bb.1391:
	global_load_ubyte v8, v[4:5], off
	s_mov_b32 s4, 0x7f800000
	s_waitcnt vmcnt(0)
	v_lshlrev_b32_e32 v8, 24, v8
	v_and_b32_e32 v9, 0x7f000000, v8
	v_ffbh_u32_e32 v11, v9
	v_min_u32_e32 v11, 32, v11
	v_sub_u32_e64 v11, v11, 4 clamp
	v_lshlrev_b32_e32 v13, v11, v9
	v_lshlrev_b32_e32 v11, 23, v11
	v_lshrrev_b32_e32 v13, 4, v13
	v_add_u32_e32 v12, 0x1000000, v9
	v_sub_u32_e32 v11, v13, v11
	v_ashrrev_i32_e32 v12, 8, v12
	v_add_u32_e32 v11, 0x3c000000, v11
	v_and_or_b32 v11, v12, s4, v11
	v_cmp_ne_u32_e32 vcc, 0, v9
	v_cndmask_b32_e32 v9, 0, v11, vcc
	s_brev_b32 s4, 1
	v_and_or_b32 v8, v8, s4, v9
	v_cvt_f64_f32_e32 v[8:9], v8
.LBB9_1392:
	s_mov_b64 s[4:5], 0
.LBB9_1393:
	s_andn2_b64 vcc, exec, s[4:5]
	s_cbranch_vccnz .LBB9_1395
; %bb.1394:
	global_load_ubyte v8, v[4:5], off
	s_movk_i32 s4, 0x7f00
	s_brev_b32 s5, 16
	s_waitcnt vmcnt(0)
	v_lshlrev_b16_e32 v9, 8, v8
	v_lshlrev_b32_e32 v8, 25, v8
	v_lshrrev_b32_e32 v11, 4, v8
	v_and_or_b32 v12, v9, s4, 0.5
	v_or_b32_e32 v11, 0x70000000, v11
	v_add_f32_e32 v12, -0.5, v12
	v_mul_f32_e32 v11, 0x7800000, v11
	v_cmp_gt_u32_e32 vcc, s5, v8
	v_bfe_i32 v9, v9, 0, 16
	v_cndmask_b32_e32 v8, v11, v12, vcc
	s_brev_b32 s4, 1
	v_and_or_b32 v8, v9, s4, v8
	v_cvt_f64_f32_e32 v[8:9], v8
.LBB9_1395:
	s_mov_b64 s[4:5], 0
	s_mov_b64 s[6:7], -1
.LBB9_1396:
	s_andn2_b64 vcc, exec, s[4:5]
	s_mov_b64 s[4:5], 0
	s_cbranch_vccnz .LBB9_1405
; %bb.1397:
	s_cmp_gt_i32 s18, 14
	s_cbranch_scc0 .LBB9_1400
; %bb.1398:
	s_cmp_eq_u32 s18, 15
	s_cbranch_scc0 .LBB9_1401
; %bb.1399:
	global_load_ushort v8, v[4:5], off
	s_mov_b64 s[0:1], 0
	s_mov_b64 s[6:7], -1
	s_waitcnt vmcnt(0)
	v_lshlrev_b32_e32 v8, 16, v8
	v_cvt_f64_f32_e32 v[8:9], v8
	s_branch .LBB9_1402
.LBB9_1400:
	s_mov_b64 s[12:13], -1
                                        ; implicit-def: $vgpr8_vgpr9
	s_branch .LBB9_1403
.LBB9_1401:
	s_mov_b64 s[0:1], -1
                                        ; implicit-def: $vgpr8_vgpr9
.LBB9_1402:
	s_mov_b64 s[12:13], 0
.LBB9_1403:
	s_and_b64 vcc, exec, s[12:13]
	s_cbranch_vccz .LBB9_1405
; %bb.1404:
	s_cmp_lg_u32 s18, 11
	s_mov_b64 s[4:5], -1
	s_cselect_b64 s[0:1], -1, 0
.LBB9_1405:
	s_and_b64 vcc, exec, s[0:1]
	s_cbranch_vccnz .LBB9_1480
; %bb.1406:
	s_andn2_b64 vcc, exec, s[4:5]
	s_cbranch_vccnz .LBB9_1408
.LBB9_1407:
	global_load_ubyte v9, v[4:5], off
	v_mov_b32_e32 v11, 0x3ff00000
	v_mov_b32_e32 v8, 0
	s_mov_b64 s[6:7], -1
	s_waitcnt vmcnt(0)
	v_cmp_ne_u16_e32 vcc, 0, v9
	v_cndmask_b32_e32 v9, 0, v11, vcc
.LBB9_1408:
	s_branch .LBB9_1335
.LBB9_1409:
	s_and_b32 s4, 0xffff, s17
	s_cmp_lt_i32 s4, 5
	s_cbranch_scc1 .LBB9_1414
; %bb.1410:
	s_cmp_lt_i32 s4, 8
	s_cbranch_scc1 .LBB9_1415
; %bb.1411:
	s_cmp_lt_i32 s4, 9
	s_cbranch_scc1 .LBB9_1416
; %bb.1412:
	s_cmp_gt_i32 s4, 9
	s_cbranch_scc0 .LBB9_1417
; %bb.1413:
	global_load_dwordx2 v[8:9], v[4:5], off
	s_mov_b64 s[0:1], 0
	s_branch .LBB9_1418
.LBB9_1414:
                                        ; implicit-def: $vgpr8_vgpr9
	s_branch .LBB9_1436
.LBB9_1415:
	s_mov_b64 s[0:1], -1
                                        ; implicit-def: $vgpr8_vgpr9
	s_branch .LBB9_1424
.LBB9_1416:
	s_mov_b64 s[0:1], -1
                                        ; implicit-def: $vgpr8_vgpr9
	s_branch .LBB9_1421
.LBB9_1417:
	s_mov_b64 s[0:1], -1
                                        ; implicit-def: $vgpr8_vgpr9
.LBB9_1418:
	s_andn2_b64 vcc, exec, s[0:1]
	s_cbranch_vccnz .LBB9_1420
; %bb.1419:
	global_load_dword v8, v[4:5], off
	s_waitcnt vmcnt(0)
	v_cvt_f64_f32_e32 v[8:9], v8
.LBB9_1420:
	s_mov_b64 s[0:1], 0
.LBB9_1421:
	s_andn2_b64 vcc, exec, s[0:1]
	s_cbranch_vccnz .LBB9_1423
; %bb.1422:
	global_load_dword v8, v[4:5], off
	s_waitcnt vmcnt(0)
	v_cvt_f32_f16_e32 v8, v8
	v_cvt_f64_f32_e32 v[8:9], v8
.LBB9_1423:
	s_mov_b64 s[0:1], 0
.LBB9_1424:
	s_andn2_b64 vcc, exec, s[0:1]
	s_cbranch_vccnz .LBB9_1435
; %bb.1425:
	s_cmp_lt_i32 s4, 6
	s_cbranch_scc1 .LBB9_1428
; %bb.1426:
	s_cmp_gt_i32 s4, 6
	s_cbranch_scc0 .LBB9_1429
; %bb.1427:
	global_load_dwordx2 v[8:9], v[4:5], off
	s_mov_b64 s[0:1], 0
	s_branch .LBB9_1430
.LBB9_1428:
	s_mov_b64 s[0:1], -1
                                        ; implicit-def: $vgpr8_vgpr9
	s_branch .LBB9_1433
.LBB9_1429:
	s_mov_b64 s[0:1], -1
                                        ; implicit-def: $vgpr8_vgpr9
.LBB9_1430:
	s_andn2_b64 vcc, exec, s[0:1]
	s_cbranch_vccnz .LBB9_1432
; %bb.1431:
	global_load_dword v8, v[4:5], off
	s_waitcnt vmcnt(0)
	v_cvt_f64_f32_e32 v[8:9], v8
.LBB9_1432:
	s_mov_b64 s[0:1], 0
.LBB9_1433:
	s_andn2_b64 vcc, exec, s[0:1]
	s_cbranch_vccnz .LBB9_1435
; %bb.1434:
	global_load_ushort v8, v[4:5], off
	s_waitcnt vmcnt(0)
	v_cvt_f32_f16_e32 v8, v8
	v_cvt_f64_f32_e32 v[8:9], v8
.LBB9_1435:
	s_cbranch_execnz .LBB9_1455
.LBB9_1436:
	s_cmp_lt_i32 s4, 2
	s_cbranch_scc1 .LBB9_1440
; %bb.1437:
	s_cmp_lt_i32 s4, 3
	s_cbranch_scc1 .LBB9_1441
; %bb.1438:
	s_cmp_gt_i32 s4, 3
	s_cbranch_scc0 .LBB9_1442
; %bb.1439:
	global_load_dwordx2 v[8:9], v[4:5], off
	s_mov_b64 s[0:1], 0
	s_waitcnt vmcnt(0)
	v_cvt_f64_i32_e32 v[11:12], v9
	v_cvt_f64_u32_e32 v[8:9], v8
	v_ldexp_f64 v[11:12], v[11:12], 32
	v_add_f64 v[8:9], v[11:12], v[8:9]
	s_branch .LBB9_1443
.LBB9_1440:
	s_mov_b64 s[0:1], -1
                                        ; implicit-def: $vgpr8_vgpr9
	s_branch .LBB9_1449
.LBB9_1441:
	s_mov_b64 s[0:1], -1
                                        ; implicit-def: $vgpr8_vgpr9
	s_branch .LBB9_1446
.LBB9_1442:
	s_mov_b64 s[0:1], -1
                                        ; implicit-def: $vgpr8_vgpr9
.LBB9_1443:
	s_andn2_b64 vcc, exec, s[0:1]
	s_cbranch_vccnz .LBB9_1445
; %bb.1444:
	global_load_dword v8, v[4:5], off
	s_waitcnt vmcnt(0)
	v_cvt_f64_i32_e32 v[8:9], v8
.LBB9_1445:
	s_mov_b64 s[0:1], 0
.LBB9_1446:
	s_andn2_b64 vcc, exec, s[0:1]
	s_cbranch_vccnz .LBB9_1448
; %bb.1447:
	global_load_sshort v8, v[4:5], off
	s_waitcnt vmcnt(0)
	v_cvt_f64_i32_e32 v[8:9], v8
.LBB9_1448:
	s_mov_b64 s[0:1], 0
.LBB9_1449:
	s_andn2_b64 vcc, exec, s[0:1]
	s_cbranch_vccnz .LBB9_1455
; %bb.1450:
	s_cmp_gt_i32 s4, 0
	s_cbranch_scc0 .LBB9_1452
; %bb.1451:
	global_load_sbyte v8, v[4:5], off
	s_mov_b64 s[0:1], 0
	s_waitcnt vmcnt(0)
	v_cvt_f64_i32_e32 v[8:9], v8
	s_branch .LBB9_1453
.LBB9_1452:
	s_mov_b64 s[0:1], -1
                                        ; implicit-def: $vgpr8_vgpr9
.LBB9_1453:
	s_andn2_b64 vcc, exec, s[0:1]
	s_cbranch_vccnz .LBB9_1455
; %bb.1454:
	global_load_ubyte v4, v[4:5], off
	s_waitcnt vmcnt(0)
	v_cvt_f64_u32_e32 v[8:9], v4
.LBB9_1455:
.LBB9_1456:
	s_mov_b32 s0, 0
	s_mov_b32 s1, 0x40200000
	s_waitcnt vmcnt(0)
	v_cmp_le_f64_e64 s[0:1], |v[8:9]|, s[0:1]
                                        ; implicit-def: $vgpr4_vgpr5
	s_and_saveexec_b64 s[4:5], s[0:1]
	s_xor_b64 s[0:1], exec, s[4:5]
	s_cbranch_execz .LBB9_1462
; %bb.1457:
	v_fma_f64 v[4:5], |v[8:9]|, 0.5, -2.0
	v_mov_b32_e32 v11, 0xc38a0576
	v_mov_b32_e32 v12, 0xbc7857d0
	s_mov_b32 s5, 0x3c499f2a
	s_mov_b32 s4, 0xc3c4014
	;; [unrolled: 1-line block ×4, first 2 shown]
	v_mov_b32_e32 v21, 0xfca7ab0c
	v_fma_f64 v[11:12], v[4:5], s[4:5], v[11:12]
	s_mov_b32 s5, 0xbc499f2a
	v_mov_b32_e32 v22, 0x3e928af3
	v_cmp_ngt_f64_e32 vcc, 0, v[8:9]
	v_fma_f64 v[15:16], v[4:5], v[11:12], s[4:5]
	s_mov_b32 s4, 0xe593bfac
	s_mov_b32 s5, 0x3ca663e3
	v_add_f64 v[15:16], v[15:16], s[4:5]
	s_mov_b32 s4, 0x7e0d1573
	s_mov_b32 s5, 0xbcd3eaaa
	v_fma_f64 v[11:12], v[4:5], v[15:16], -v[11:12]
	v_add_f64 v[11:12], v[11:12], s[4:5]
	s_mov_b32 s4, 0x615290c
	s_mov_b32 s5, 0x3d011d7f
	v_fma_f64 v[15:16], v[4:5], v[11:12], -v[15:16]
	v_add_f64 v[15:16], v[15:16], s[4:5]
	s_mov_b32 s4, 0x1c8f0b3b
	s_mov_b32 s5, 0xbd2c628e
	v_fma_f64 v[11:12], v[4:5], v[15:16], -v[11:12]
	v_add_f64 v[11:12], v[11:12], s[4:5]
	s_mov_b32 s4, 0x4779d955
	s_mov_b32 s5, 0x3d56af78
	v_fma_f64 v[15:16], v[4:5], v[11:12], -v[15:16]
	v_add_f64 v[15:16], v[15:16], s[4:5]
	s_mov_b32 s4, 0x5fb70366
	s_mov_b32 s5, 0xbd817383
	v_fma_f64 v[11:12], v[4:5], v[15:16], -v[11:12]
	v_add_f64 v[11:12], v[11:12], s[4:5]
	s_mov_b32 s4, 0xb21d3154
	s_mov_b32 s5, 0x3da9cee2
	v_fma_f64 v[15:16], v[4:5], v[11:12], -v[15:16]
	v_add_f64 v[15:16], v[15:16], s[4:5]
	s_mov_b32 s4, 0x97eb07de
	s_mov_b32 s5, 0xbdd25103
	v_fma_f64 v[11:12], v[4:5], v[15:16], -v[11:12]
	v_add_f64 v[11:12], v[11:12], s[4:5]
	s_mov_b32 s4, 0xb43fdf6c
	s_mov_b32 s5, 0x3df8ea34
	v_fma_f64 v[15:16], v[4:5], v[11:12], -v[15:16]
	v_add_f64 v[15:16], v[15:16], s[4:5]
	s_mov_b32 s4, 0x28ea67e6
	s_mov_b32 s5, 0xbe20361b
	v_fma_f64 v[11:12], v[4:5], v[15:16], -v[11:12]
	v_add_f64 v[11:12], v[11:12], s[4:5]
	s_mov_b32 s4, 0x2395010
	s_mov_b32 s5, 0x3e44258e
	v_fma_f64 v[15:16], v[4:5], v[11:12], -v[15:16]
	v_add_f64 v[15:16], v[15:16], s[4:5]
	s_mov_b32 s4, 0x24b8c3e8
	s_mov_b32 s5, 0xbe67dd3e
	v_fma_f64 v[11:12], v[4:5], v[15:16], -v[11:12]
	v_add_f64 v[11:12], v[11:12], s[4:5]
	s_mov_b32 s4, 0xb347d108
	s_mov_b32 s5, 0x3e8ae344
	v_fma_f64 v[15:16], v[4:5], v[11:12], -v[15:16]
	v_add_f64 v[15:16], v[15:16], s[4:5]
	s_mov_b32 s4, 0x8363992a
	s_mov_b32 s5, 0xbeacc079
	v_fma_f64 v[11:12], v[4:5], v[15:16], -v[11:12]
	v_add_f64 v[11:12], v[11:12], s[4:5]
	s_mov_b32 s4, 0xd511afc5
	s_mov_b32 s5, 0x3ecd1c4e
	v_fma_f64 v[15:16], v[4:5], v[11:12], -v[15:16]
	v_add_f64 v[15:16], v[15:16], s[4:5]
	s_mov_b32 s4, 0xb8debbcf
	s_mov_b32 s5, 0xbeebd5f9
	v_fma_f64 v[11:12], v[4:5], v[15:16], -v[11:12]
	v_add_f64 v[11:12], v[11:12], s[4:5]
	s_mov_b32 s4, 0x42c70d0b
	s_mov_b32 s5, 0x3f0911b5
	v_fma_f64 v[15:16], v[4:5], v[11:12], -v[15:16]
	v_add_f64 v[15:16], v[15:16], s[4:5]
	s_mov_b32 s4, 0xd3d694fe
	s_mov_b32 s5, 0xbf2533ca
	v_fma_f64 v[11:12], v[4:5], v[15:16], -v[11:12]
	v_add_f64 v[11:12], v[11:12], s[4:5]
	s_mov_b32 s4, 0xb6c6df7d
	s_mov_b32 s5, 0x3f40c95d
	v_fma_f64 v[15:16], v[4:5], v[11:12], -v[15:16]
	v_add_f64 v[15:16], v[15:16], s[4:5]
	s_mov_b32 s4, 0xb3cd4a4
	s_mov_b32 s5, 0xbf58cc62
	v_fma_f64 v[11:12], v[4:5], v[15:16], -v[11:12]
	v_add_f64 v[11:12], v[11:12], s[4:5]
	s_mov_b32 s4, 0x49d3a1b4
	s_mov_b32 s5, 0x3f710653
	v_fma_f64 v[15:16], v[4:5], v[11:12], -v[15:16]
	v_add_f64 v[15:16], v[15:16], s[4:5]
	s_mov_b32 s4, 0x652b82fe
	s_mov_b32 s5, 0x3ff71547
	v_mul_f64 v[17:18], |v[8:9]|, s[4:5]
	s_mov_b32 s4, 0x7913a26a
	s_mov_b32 s5, 0xbf85a29f
	v_fma_f64 v[11:12], v[4:5], v[15:16], -v[11:12]
	v_rndne_f64_e32 v[17:18], v[17:18]
	v_add_f64 v[11:12], v[11:12], s[4:5]
	s_mov_b32 s4, 0xfefa39ef
	s_mov_b32 s5, 0xbfe62e42
	v_fma_f64 v[19:20], v[17:18], s[4:5], |v[8:9]|
	s_mov_b32 s4, 0xe7bb2349
	s_mov_b32 s5, 0x3f9951e3
	v_cvt_i32_f64_e32 v13, v[17:18]
	v_fma_f64 v[15:16], v[4:5], v[11:12], -v[15:16]
	v_fma_f64 v[19:20], v[17:18], s[6:7], v[19:20]
	s_mov_b32 s6, 0x623fde64
	s_mov_b32 s7, 0x3ec71dee
	v_add_f64 v[15:16], v[15:16], s[4:5]
	s_mov_b32 s4, 0x6a5dcb37
	s_mov_b32 s5, 0x3e5ade15
	v_fma_f64 v[21:22], v[19:20], s[4:5], v[21:22]
	s_mov_b32 s4, 0x537c9ebc
	s_mov_b32 s5, 0xbfab1bbc
	v_fma_f64 v[11:12], v[4:5], v[15:16], -v[11:12]
	v_fma_f64 v[21:22], v[19:20], v[21:22], s[6:7]
	s_mov_b32 s6, 0x14761f6e
	s_mov_b32 s7, 0x3f2a01a0
	v_add_f64 v[11:12], v[11:12], s[4:5]
	s_mov_b32 s4, 0x7c89e6b0
	s_mov_b32 s5, 0x3efa0199
	v_fma_f64 v[21:22], v[19:20], v[21:22], s[4:5]
	s_mov_b32 s4, 0xd536f53c
	s_mov_b32 s5, 0x3fba46da
	;; [unrolled: 10-line block ×3, first 2 shown]
	v_fma_f64 v[11:12], v[4:5], v[15:16], -v[11:12]
	v_fma_f64 v[21:22], v[19:20], v[21:22], s[6:7]
	s_mov_b32 s6, 0x55555511
	s_mov_b32 s7, 0x3fc55555
	v_add_f64 v[11:12], v[11:12], s[4:5]
	s_mov_b32 s4, 0x555502a1
	s_mov_b32 s5, 0x3fa55555
	v_fma_f64 v[4:5], v[4:5], v[11:12], -v[15:16]
	v_fma_f64 v[11:12], v[19:20], v[21:22], s[4:5]
	s_mov_b32 s4, 0x724a7ffa
	s_mov_b32 s5, 0x3fd02a63
	v_add_f64 v[4:5], v[4:5], s[4:5]
	v_fma_f64 v[11:12], v[19:20], v[11:12], s[6:7]
	s_mov_b32 s4, 11
	s_mov_b32 s5, 0x3fe00000
	v_add_f64 v[4:5], v[4:5], -v[15:16]
	v_fma_f64 v[11:12], v[19:20], v[11:12], s[4:5]
	v_mul_f64 v[4:5], v[4:5], 0.5
	v_fma_f64 v[15:16], v[19:20], v[11:12], 1.0
	v_mul_f64 v[11:12], |v[8:9]|, v[4:5]
	v_fma_f64 v[15:16], v[19:20], v[15:16], 1.0
                                        ; implicit-def: $vgpr4_vgpr5
	s_and_saveexec_b64 s[4:5], vcc
	s_xor_b64 s[4:5], exec, s[4:5]
	s_cbranch_execz .LBB9_1459
; %bb.1458:
	s_mov_b32 s6, 0
	s_mov_b32 s7, 0x40900000
	v_ldexp_f64 v[4:5], v[15:16], v13
	v_cmp_ngt_f64_e64 vcc, |v[8:9]|, s[6:7]
	v_mov_b32_e32 v13, 0x7ff00000
                                        ; implicit-def: $vgpr15_vgpr16
                                        ; implicit-def: $vgpr8_vgpr9
	v_cndmask_b32_e32 v5, v13, v5, vcc
	v_cndmask_b32_e32 v4, 0, v4, vcc
	v_mul_f64 v[4:5], v[4:5], v[11:12]
                                        ; implicit-def: $vgpr13
                                        ; implicit-def: $vgpr11_vgpr12
.LBB9_1459:
	s_andn2_saveexec_b64 s[4:5], s[4:5]
	s_cbranch_execz .LBB9_1461
; %bb.1460:
	s_mov_b32 s6, 0
	s_mov_b32 s7, 0x40900000
	v_ldexp_f64 v[4:5], -v[15:16], v13
	v_cmp_ngt_f64_e64 vcc, |v[8:9]|, s[6:7]
	v_mov_b32_e32 v13, 0xfff00000
	v_cndmask_b32_e32 v5, v13, v5, vcc
	v_cndmask_b32_e32 v4, 0, v4, vcc
	v_mul_f64 v[4:5], v[4:5], v[11:12]
.LBB9_1461:
	s_or_b64 exec, exec, s[4:5]
                                        ; implicit-def: $vgpr8_vgpr9
.LBB9_1462:
	s_andn2_saveexec_b64 s[4:5], s[0:1]
	s_cbranch_execz .LBB9_1468
; %bb.1463:
	s_mov_b32 s0, 0
	v_and_b32_e32 v5, 0x7fffffff, v9
	v_mov_b32_e32 v4, v8
	s_mov_b32 s1, 0x40400000
	v_div_scale_f64 v[11:12], s[6:7], v[4:5], v[4:5], s[0:1]
	v_div_scale_f64 v[4:5], vcc, s[0:1], v[4:5], s[0:1]
	v_mov_b32_e32 v21, 0xfca7ab0c
	v_mov_b32_e32 v22, 0x3e928af3
	v_rcp_f64_e32 v[15:16], v[11:12]
	v_fma_f64 v[17:18], -v[11:12], v[15:16], 1.0
	v_fma_f64 v[15:16], v[15:16], v[17:18], v[15:16]
	v_fma_f64 v[17:18], -v[11:12], v[15:16], 1.0
	v_fma_f64 v[15:16], v[15:16], v[17:18], v[15:16]
	v_mul_f64 v[17:18], v[4:5], v[15:16]
	v_fma_f64 v[4:5], -v[11:12], v[17:18], v[4:5]
	v_mov_b32_e32 v11, 0xea87b950
	v_mov_b32_e32 v12, 0x3c545b8a
	v_div_fmas_f64 v[4:5], v[4:5], v[15:16], v[17:18]
	v_cmp_ngt_f64_e32 vcc, 0, v[8:9]
	v_div_fixup_f64 v[4:5], v[4:5], |v[8:9]|, s[0:1]
	s_mov_b32 s1, 0x3c61556d
	s_mov_b32 s0, 0xb352e8e6
	v_add_f64 v[4:5], v[4:5], -2.0
	v_fma_f64 v[11:12], v[4:5], s[0:1], v[11:12]
	s_mov_b32 s1, 0xbc61556d
	v_fma_f64 v[15:16], v[4:5], v[11:12], s[0:1]
	s_mov_b32 s0, 0xb2532277
	s_mov_b32 s1, 0xbc8acea3
	v_add_f64 v[15:16], v[15:16], s[0:1]
	s_mov_b32 s0, 0x9c773320
	s_mov_b32 s1, 0xbc82806c
	v_fma_f64 v[11:12], v[4:5], v[15:16], -v[11:12]
	v_add_f64 v[11:12], v[11:12], s[0:1]
	s_mov_b32 s0, 0xfceb588a
	s_mov_b32 s1, 0x3cb55915
	v_fma_f64 v[15:16], v[4:5], v[11:12], -v[15:16]
	;; [unrolled: 4-line block ×14, first 2 shown]
	v_add_f64 v[15:16], v[15:16], s[0:1]
	s_mov_b32 s0, 0x652b82fe
	s_mov_b32 s1, 0x3ff71547
	v_mul_f64 v[17:18], |v[8:9]|, s[0:1]
	s_mov_b32 s0, 0x5423dd80
	s_mov_b32 s1, 0xbe0334ca
	v_fma_f64 v[11:12], v[4:5], v[15:16], -v[11:12]
	v_rndne_f64_e32 v[17:18], v[17:18]
	v_add_f64 v[11:12], v[11:12], s[0:1]
	s_mov_b32 s0, 0xfefa39ef
	s_mov_b32 s1, 0xbfe62e42
	v_fma_f64 v[19:20], v[17:18], s[0:1], |v[8:9]|
	s_mov_b32 s0, 0x9ad53528
	s_mov_b32 s1, 0xbe30790b
	v_cvt_i32_f64_e32 v13, v[17:18]
	v_fma_f64 v[15:16], v[4:5], v[11:12], -v[15:16]
	v_add_f64 v[15:16], v[15:16], s[0:1]
	s_mov_b32 s0, 0x3b39803f
	s_mov_b32 s1, 0xbc7abc9e
	v_fma_f64 v[19:20], v[17:18], s[0:1], v[19:20]
	s_mov_b32 s0, 0x6a5dcb37
	s_mov_b32 s1, 0x3e5ade15
	v_fma_f64 v[11:12], v[4:5], v[15:16], -v[11:12]
	v_fma_f64 v[21:22], v[19:20], s[0:1], v[21:22]
	s_mov_b32 s0, 0x94bb46c1
	s_mov_b32 s1, 0xbe5c4153
	v_add_f64 v[11:12], v[11:12], s[0:1]
	s_mov_b32 s0, 0x623fde64
	s_mov_b32 s1, 0x3ec71dee
	v_fma_f64 v[21:22], v[19:20], v[21:22], s[0:1]
	s_mov_b32 s0, 0x7c89e6b0
	s_mov_b32 s1, 0x3efa0199
	v_fma_f64 v[15:16], v[4:5], v[11:12], -v[15:16]
	v_fma_f64 v[21:22], v[19:20], v[21:22], s[0:1]
	s_mov_b32 s0, 0x2e9e5443
	s_mov_b32 s1, 0xbe90dbfd
	;; [unrolled: 10-line block ×5, first 2 shown]
	v_add_f64 v[11:12], v[11:12], s[0:1]
	s_mov_b32 s0, 0xb55b1514
	s_mov_b32 s1, 0x3fe8ea18
	v_fma_f64 v[21:22], v[19:20], v[21:22], 1.0
	v_fma_f64 v[4:5], v[4:5], v[11:12], -v[15:16]
	v_fma_f64 v[11:12], v[19:20], v[21:22], 1.0
	v_add_f64 v[4:5], v[4:5], s[0:1]
	s_mov_b32 s0, 0
	s_mov_b32 s1, 0x40900000
	v_ldexp_f64 v[11:12], v[11:12], v13
	v_cmp_ngt_f64_e64 s[0:1], |v[8:9]|, s[0:1]
	v_mov_b32_e32 v13, 0x7ff00000
	v_add_f64 v[15:16], v[4:5], -v[15:16]
                                        ; implicit-def: $vgpr4_vgpr5
	v_cndmask_b32_e64 v12, v13, v12, s[0:1]
	v_cndmask_b32_e64 v11, 0, v11, s[0:1]
	s_and_saveexec_b64 s[0:1], vcc
	s_xor_b64 s[0:1], exec, s[0:1]
	s_cbranch_execz .LBB9_1465
; %bb.1464:
	s_mov_b32 s6, 0
	s_brev_b32 s7, 8
	v_cmp_lt_f64_e64 vcc, |v[8:9]|, s[6:7]
	v_mov_b32_e32 v4, 0x100
	v_mul_f64 v[15:16], v[15:16], 0.5
	v_mov_b32_e32 v13, 0xffffff80
	v_cndmask_b32_e32 v4, 0, v4, vcc
	v_ldexp_f64 v[4:5], |v[8:9]|, v4
	v_cndmask_b32_e32 v13, 0, v13, vcc
	v_mul_f64 v[11:12], v[11:12], v[15:16]
	v_rsq_f64_e32 v[8:9], v[4:5]
	v_mul_f64 v[17:18], v[4:5], v[8:9]
	v_mul_f64 v[8:9], v[8:9], 0.5
	v_fma_f64 v[19:20], -v[8:9], v[17:18], 0.5
	v_fma_f64 v[17:18], v[17:18], v[19:20], v[17:18]
	v_fma_f64 v[8:9], v[8:9], v[19:20], v[8:9]
	v_fma_f64 v[19:20], -v[17:18], v[17:18], v[4:5]
	v_fma_f64 v[17:18], v[19:20], v[8:9], v[17:18]
	v_fma_f64 v[19:20], -v[17:18], v[17:18], v[4:5]
	v_fma_f64 v[8:9], v[19:20], v[8:9], v[17:18]
	v_mov_b32_e32 v17, 0x260
	v_cmp_class_f64_e32 vcc, v[4:5], v17
	v_ldexp_f64 v[8:9], v[8:9], v13
	v_cndmask_b32_e32 v5, v9, v5, vcc
	v_cndmask_b32_e32 v4, v8, v4, vcc
	v_div_scale_f64 v[8:9], s[6:7], v[4:5], v[4:5], v[11:12]
	v_div_scale_f64 v[19:20], vcc, v[11:12], v[4:5], v[11:12]
	v_rcp_f64_e32 v[15:16], v[8:9]
	v_fma_f64 v[17:18], -v[8:9], v[15:16], 1.0
	v_fma_f64 v[15:16], v[15:16], v[17:18], v[15:16]
	v_fma_f64 v[17:18], -v[8:9], v[15:16], 1.0
	v_fma_f64 v[15:16], v[15:16], v[17:18], v[15:16]
	v_mul_f64 v[17:18], v[19:20], v[15:16]
	v_fma_f64 v[8:9], -v[8:9], v[17:18], v[19:20]
	v_div_fmas_f64 v[8:9], v[8:9], v[15:16], v[17:18]
                                        ; implicit-def: $vgpr15_vgpr16
	v_div_fixup_f64 v[4:5], v[8:9], v[4:5], v[11:12]
                                        ; implicit-def: $vgpr8_vgpr9
                                        ; implicit-def: $vgpr11_vgpr12
.LBB9_1465:
	s_andn2_saveexec_b64 s[0:1], s[0:1]
	s_cbranch_execz .LBB9_1467
; %bb.1466:
	s_mov_b32 s6, 0
	s_brev_b32 s7, 8
	v_cmp_lt_f64_e64 vcc, |v[8:9]|, s[6:7]
	v_mov_b32_e32 v4, 0x100
	v_mul_f64 v[15:16], v[15:16], -0.5
	v_mov_b32_e32 v13, 0xffffff80
	v_cndmask_b32_e32 v4, 0, v4, vcc
	v_ldexp_f64 v[4:5], |v[8:9]|, v4
	v_cndmask_b32_e32 v13, 0, v13, vcc
	v_mul_f64 v[11:12], v[11:12], v[15:16]
	v_rsq_f64_e32 v[8:9], v[4:5]
	v_mul_f64 v[17:18], v[4:5], v[8:9]
	v_mul_f64 v[8:9], v[8:9], 0.5
	v_fma_f64 v[19:20], -v[8:9], v[17:18], 0.5
	v_fma_f64 v[17:18], v[17:18], v[19:20], v[17:18]
	v_fma_f64 v[8:9], v[8:9], v[19:20], v[8:9]
	v_fma_f64 v[19:20], -v[17:18], v[17:18], v[4:5]
	v_fma_f64 v[17:18], v[19:20], v[8:9], v[17:18]
	v_fma_f64 v[19:20], -v[17:18], v[17:18], v[4:5]
	v_fma_f64 v[8:9], v[19:20], v[8:9], v[17:18]
	v_mov_b32_e32 v17, 0x260
	v_cmp_class_f64_e32 vcc, v[4:5], v17
	v_ldexp_f64 v[8:9], v[8:9], v13
	v_cndmask_b32_e32 v5, v9, v5, vcc
	v_cndmask_b32_e32 v4, v8, v4, vcc
	v_div_scale_f64 v[8:9], s[6:7], v[4:5], v[4:5], v[11:12]
	v_div_scale_f64 v[19:20], vcc, v[11:12], v[4:5], v[11:12]
	v_rcp_f64_e32 v[15:16], v[8:9]
	v_fma_f64 v[17:18], -v[8:9], v[15:16], 1.0
	v_fma_f64 v[15:16], v[15:16], v[17:18], v[15:16]
	v_fma_f64 v[17:18], -v[8:9], v[15:16], 1.0
	v_fma_f64 v[15:16], v[15:16], v[17:18], v[15:16]
	v_mul_f64 v[17:18], v[19:20], v[15:16]
	v_fma_f64 v[8:9], -v[8:9], v[17:18], v[19:20]
	v_div_fmas_f64 v[8:9], v[8:9], v[15:16], v[17:18]
	v_div_fixup_f64 v[4:5], v[8:9], v[4:5], v[11:12]
.LBB9_1467:
	s_or_b64 exec, exec, s[0:1]
.LBB9_1468:
	s_or_b64 exec, exec, s[4:5]
	v_mov_b32_e32 v8, s11
	v_add_co_u32_e32 v7, vcc, s10, v7
	s_cmp_lt_i32 s17, 11
	v_addc_co_u32_e32 v8, vcc, 0, v8, vcc
	s_cbranch_scc1 .LBB9_1475
; %bb.1469:
	s_and_b32 s18, 0xffff, s17
	s_cmp_gt_i32 s18, 25
	s_mov_b64 s[4:5], 0
	s_cbranch_scc0 .LBB9_1477
; %bb.1470:
	s_cmp_gt_i32 s18, 28
	s_cbranch_scc0 .LBB9_1478
; %bb.1471:
	s_cmp_gt_i32 s18, 43
	;; [unrolled: 3-line block ×3, first 2 shown]
	s_cbranch_scc0 .LBB9_1481
; %bb.1473:
	s_cmp_eq_u32 s18, 46
	s_mov_b64 s[12:13], 0
	s_cbranch_scc0 .LBB9_1482
; %bb.1474:
	global_load_dword v9, v[7:8], off
	s_mov_b64 s[0:1], 0
	s_mov_b64 s[6:7], -1
	s_waitcnt vmcnt(0)
	v_lshlrev_b32_e32 v9, 16, v9
	v_cvt_f64_f32_e32 v[11:12], v9
	s_branch .LBB9_1483
.LBB9_1475:
	s_mov_b64 s[6:7], 0
                                        ; implicit-def: $vgpr11_vgpr12
	s_cbranch_execnz .LBB9_1549
.LBB9_1476:
	s_andn2_b64 vcc, exec, s[6:7]
	s_cbranch_vccnz .LBB9_1829
	s_branch .LBB9_1597
.LBB9_1477:
	s_mov_b64 s[12:13], -1
	s_mov_b64 s[6:7], 0
	s_mov_b64 s[0:1], 0
                                        ; implicit-def: $vgpr11_vgpr12
	s_branch .LBB9_1514
.LBB9_1478:
	s_mov_b64 s[12:13], -1
	s_mov_b64 s[6:7], 0
	s_mov_b64 s[0:1], 0
                                        ; implicit-def: $vgpr11_vgpr12
	s_branch .LBB9_1493
.LBB9_1479:
	s_mov_b64 s[12:13], -1
	s_mov_b64 s[6:7], 0
	s_mov_b64 s[0:1], 0
                                        ; implicit-def: $vgpr11_vgpr12
	s_branch .LBB9_1488
.LBB9_1480:
	s_trap 2
	s_or_b64 s[2:3], s[2:3], exec
	s_cbranch_execz .LBB9_1407
	s_branch .LBB9_1408
.LBB9_1481:
	s_mov_b64 s[12:13], -1
	s_mov_b64 s[6:7], 0
	s_mov_b64 s[0:1], 0
                                        ; implicit-def: $vgpr11_vgpr12
	s_branch .LBB9_1483
.LBB9_1482:
	s_mov_b64 s[0:1], -1
                                        ; implicit-def: $vgpr11_vgpr12
	s_mov_b64 s[6:7], 0
.LBB9_1483:
	s_and_b64 vcc, exec, s[12:13]
	s_cbranch_vccz .LBB9_1487
; %bb.1484:
	s_cmp_eq_u32 s18, 44
	s_cbranch_scc0 .LBB9_1486
; %bb.1485:
	global_load_ubyte v9, v[7:8], off
	s_movk_i32 s6, 0xff
	v_bfrev_b32_e32 v13, 4
	v_mov_b32_e32 v15, 0x7ff80000
	v_bfrev_b32_e32 v16, 28
	s_mov_b64 s[0:1], 0
	s_waitcnt vmcnt(0)
	v_lshlrev_b32_e32 v11, 23, v9
	v_cvt_f64_f32_e32 v[11:12], v11
	v_cmp_ne_u32_e32 vcc, s6, v9
	s_mov_b64 s[6:7], -1
	v_cndmask_b32_e32 v11, v13, v11, vcc
	v_cndmask_b32_e32 v12, v15, v12, vcc
	v_cmp_ne_u32_e32 vcc, 0, v9
	v_cndmask_b32_e32 v12, v16, v12, vcc
	v_cndmask_b32_e32 v11, 0, v11, vcc
	s_branch .LBB9_1487
.LBB9_1486:
	s_mov_b64 s[0:1], -1
                                        ; implicit-def: $vgpr11_vgpr12
.LBB9_1487:
	s_mov_b64 s[12:13], 0
.LBB9_1488:
	s_and_b64 vcc, exec, s[12:13]
	s_cbranch_vccz .LBB9_1492
; %bb.1489:
	s_cmp_eq_u32 s18, 29
	s_cbranch_scc0 .LBB9_1491
; %bb.1490:
	global_load_dwordx2 v[11:12], v[7:8], off
	s_mov_b64 s[0:1], 0
	s_mov_b64 s[6:7], -1
	s_mov_b64 s[12:13], 0
	s_waitcnt vmcnt(0)
	v_cvt_f64_u32_e32 v[12:13], v12
	v_cvt_f64_u32_e32 v[15:16], v11
	v_ldexp_f64 v[12:13], v[12:13], 32
	v_add_f64 v[11:12], v[12:13], v[15:16]
	s_branch .LBB9_1493
.LBB9_1491:
	s_mov_b64 s[0:1], -1
                                        ; implicit-def: $vgpr11_vgpr12
.LBB9_1492:
	s_mov_b64 s[12:13], 0
.LBB9_1493:
	s_and_b64 vcc, exec, s[12:13]
	s_cbranch_vccz .LBB9_1513
; %bb.1494:
	s_cmp_lt_i32 s18, 27
	s_cbranch_scc1 .LBB9_1497
; %bb.1495:
	s_cmp_gt_i32 s18, 27
	s_cbranch_scc0 .LBB9_1498
; %bb.1496:
	global_load_dword v9, v[7:8], off
	s_mov_b64 s[6:7], 0
	s_waitcnt vmcnt(0)
	v_cvt_f64_u32_e32 v[11:12], v9
	s_branch .LBB9_1499
.LBB9_1497:
	s_mov_b64 s[6:7], -1
                                        ; implicit-def: $vgpr11_vgpr12
	s_branch .LBB9_1502
.LBB9_1498:
	s_mov_b64 s[6:7], -1
                                        ; implicit-def: $vgpr11_vgpr12
.LBB9_1499:
	s_andn2_b64 vcc, exec, s[6:7]
	s_cbranch_vccnz .LBB9_1501
; %bb.1500:
	global_load_ushort v9, v[7:8], off
	s_waitcnt vmcnt(0)
	v_cvt_f64_u32_e32 v[11:12], v9
.LBB9_1501:
	s_mov_b64 s[6:7], 0
.LBB9_1502:
	s_andn2_b64 vcc, exec, s[6:7]
	s_cbranch_vccnz .LBB9_1512
; %bb.1503:
	global_load_ubyte v9, v[7:8], off
	s_movk_i32 s6, 0x7f
	s_waitcnt vmcnt(0)
	v_cmp_lt_i16_e32 vcc, s6, v9
	s_mov_b64 s[6:7], 0
	s_and_saveexec_b64 s[12:13], vcc
	s_xor_b64 s[12:13], exec, s[12:13]
	s_cbranch_execz .LBB9_1507
; %bb.1504:
	s_movk_i32 s6, 0x80
	v_cmp_eq_u16_e32 vcc, s6, v9
	s_mov_b64 s[6:7], -1
	s_and_saveexec_b64 s[14:15], vcc
; %bb.1505:
	s_xor_b64 s[6:7], exec, -1
; %bb.1506:
	s_or_b64 exec, exec, s[14:15]
	s_and_b64 s[6:7], s[6:7], exec
.LBB9_1507:
	s_or_saveexec_b64 s[12:13], s[12:13]
	v_bfrev_b32_e32 v11, 4
	v_mov_b32_e32 v12, 0x7ff80000
	s_xor_b64 exec, exec, s[12:13]
; %bb.1508:
	v_cmp_ne_u16_e32 vcc, 0, v9
	v_mov_b32_e32 v11, 0
	s_andn2_b64 s[6:7], s[6:7], exec
	s_and_b64 s[14:15], vcc, exec
	v_mov_b32_e32 v12, 0
	s_or_b64 s[6:7], s[6:7], s[14:15]
; %bb.1509:
	s_or_b64 exec, exec, s[12:13]
	s_and_saveexec_b64 s[12:13], s[6:7]
	s_cbranch_execz .LBB9_1511
; %bb.1510:
	v_lshlrev_b32_e32 v11, 24, v9
	v_and_b32_e32 v9, 0xffff, v9
	v_and_b32_e32 v12, 7, v9
	v_ffbh_u32_e32 v15, v12
	v_min_u32_e32 v15, 32, v15
	v_subrev_u32_e32 v16, 28, v15
	v_bfe_u32 v13, v9, 3, 4
	v_lshlrev_b32_e32 v9, v16, v9
	v_sub_u32_e32 v15, 29, v15
	v_and_b32_e32 v9, 7, v9
	v_cmp_eq_u32_e32 vcc, 0, v13
	v_cndmask_b32_e32 v13, v13, v15, vcc
	v_cndmask_b32_e32 v9, v12, v9, vcc
	v_mov_b32_e32 v12, 0x3b800000
	v_lshlrev_b32_e32 v9, 20, v9
	v_and_b32_e32 v11, 0x80000000, v11
	v_lshl_add_u32 v12, v13, 23, v12
	v_or3_b32 v9, v11, v12, v9
	v_cvt_f64_f32_e32 v[11:12], v9
.LBB9_1511:
	s_or_b64 exec, exec, s[12:13]
.LBB9_1512:
	s_mov_b64 s[6:7], -1
.LBB9_1513:
	s_mov_b64 s[12:13], 0
.LBB9_1514:
	s_and_b64 vcc, exec, s[12:13]
	s_cbranch_vccz .LBB9_1545
; %bb.1515:
	s_cmp_gt_i32 s18, 22
	s_cbranch_scc0 .LBB9_1527
; %bb.1516:
	s_cmp_lt_i32 s18, 24
	s_cbranch_scc1 .LBB9_1528
; %bb.1517:
	s_cmp_gt_i32 s18, 24
	s_cbranch_scc0 .LBB9_1529
; %bb.1518:
	global_load_ubyte v9, v[7:8], off
	s_movk_i32 s4, 0x7f
	s_waitcnt vmcnt(0)
	v_cmp_lt_i16_e32 vcc, s4, v9
	s_mov_b64 s[4:5], 0
	s_and_saveexec_b64 s[6:7], vcc
	s_xor_b64 s[6:7], exec, s[6:7]
	s_cbranch_execz .LBB9_1522
; %bb.1519:
	s_movk_i32 s4, 0x80
	v_cmp_eq_u16_e32 vcc, s4, v9
	s_mov_b64 s[4:5], -1
	s_and_saveexec_b64 s[12:13], vcc
; %bb.1520:
	s_xor_b64 s[4:5], exec, -1
; %bb.1521:
	s_or_b64 exec, exec, s[12:13]
	s_and_b64 s[4:5], s[4:5], exec
.LBB9_1522:
	s_or_saveexec_b64 s[6:7], s[6:7]
	v_bfrev_b32_e32 v11, 4
	v_mov_b32_e32 v12, 0x7ff80000
	s_xor_b64 exec, exec, s[6:7]
; %bb.1523:
	v_cmp_ne_u16_e32 vcc, 0, v9
	v_mov_b32_e32 v11, 0
	s_andn2_b64 s[4:5], s[4:5], exec
	s_and_b64 s[12:13], vcc, exec
	v_mov_b32_e32 v12, 0
	s_or_b64 s[4:5], s[4:5], s[12:13]
; %bb.1524:
	s_or_b64 exec, exec, s[6:7]
	s_and_saveexec_b64 s[6:7], s[4:5]
	s_cbranch_execz .LBB9_1526
; %bb.1525:
	v_lshlrev_b32_e32 v11, 24, v9
	v_and_b32_e32 v9, 0xffff, v9
	v_and_b32_e32 v12, 3, v9
	v_ffbh_u32_e32 v15, v12
	v_min_u32_e32 v15, 32, v15
	v_subrev_u32_e32 v16, 29, v15
	v_bfe_u32 v13, v9, 2, 5
	v_lshlrev_b32_e32 v9, v16, v9
	v_sub_u32_e32 v15, 30, v15
	v_and_b32_e32 v9, 3, v9
	v_cmp_eq_u32_e32 vcc, 0, v13
	v_cndmask_b32_e32 v13, v13, v15, vcc
	v_cndmask_b32_e32 v9, v12, v9, vcc
	v_mov_b32_e32 v12, 0x37800000
	v_lshlrev_b32_e32 v9, 21, v9
	v_and_b32_e32 v11, 0x80000000, v11
	v_lshl_add_u32 v12, v13, 23, v12
	v_or3_b32 v9, v11, v12, v9
	v_cvt_f64_f32_e32 v[11:12], v9
.LBB9_1526:
	s_or_b64 exec, exec, s[6:7]
	s_mov_b64 s[4:5], 0
	s_branch .LBB9_1530
.LBB9_1527:
	s_mov_b64 s[4:5], -1
                                        ; implicit-def: $vgpr11_vgpr12
	s_branch .LBB9_1536
.LBB9_1528:
	s_mov_b64 s[4:5], -1
                                        ; implicit-def: $vgpr11_vgpr12
	s_branch .LBB9_1533
.LBB9_1529:
	s_mov_b64 s[4:5], -1
                                        ; implicit-def: $vgpr11_vgpr12
.LBB9_1530:
	s_and_b64 vcc, exec, s[4:5]
	s_cbranch_vccz .LBB9_1532
; %bb.1531:
	global_load_ubyte v9, v[7:8], off
	s_mov_b32 s4, 0x7f800000
	s_waitcnt vmcnt(0)
	v_lshlrev_b32_e32 v9, 24, v9
	v_and_b32_e32 v11, 0x7f000000, v9
	v_ffbh_u32_e32 v12, v11
	v_min_u32_e32 v12, 32, v12
	v_sub_u32_e64 v12, v12, 4 clamp
	v_lshlrev_b32_e32 v15, v12, v11
	v_lshlrev_b32_e32 v12, 23, v12
	v_lshrrev_b32_e32 v15, 4, v15
	v_add_u32_e32 v13, 0x1000000, v11
	v_sub_u32_e32 v12, v15, v12
	v_ashrrev_i32_e32 v13, 8, v13
	v_add_u32_e32 v12, 0x3c000000, v12
	v_and_or_b32 v12, v13, s4, v12
	v_cmp_ne_u32_e32 vcc, 0, v11
	v_cndmask_b32_e32 v11, 0, v12, vcc
	s_brev_b32 s4, 1
	v_and_or_b32 v9, v9, s4, v11
	v_cvt_f64_f32_e32 v[11:12], v9
.LBB9_1532:
	s_mov_b64 s[4:5], 0
.LBB9_1533:
	s_andn2_b64 vcc, exec, s[4:5]
	s_cbranch_vccnz .LBB9_1535
; %bb.1534:
	global_load_ubyte v9, v[7:8], off
	s_movk_i32 s4, 0x7f00
	s_brev_b32 s5, 16
	s_waitcnt vmcnt(0)
	v_lshlrev_b16_e32 v11, 8, v9
	v_lshlrev_b32_e32 v9, 25, v9
	v_lshrrev_b32_e32 v12, 4, v9
	v_and_or_b32 v13, v11, s4, 0.5
	v_or_b32_e32 v12, 0x70000000, v12
	v_add_f32_e32 v13, -0.5, v13
	v_mul_f32_e32 v12, 0x7800000, v12
	v_cmp_gt_u32_e32 vcc, s5, v9
	v_bfe_i32 v11, v11, 0, 16
	v_cndmask_b32_e32 v9, v12, v13, vcc
	s_brev_b32 s4, 1
	v_and_or_b32 v9, v11, s4, v9
	v_cvt_f64_f32_e32 v[11:12], v9
.LBB9_1535:
	s_mov_b64 s[4:5], 0
	s_mov_b64 s[6:7], -1
.LBB9_1536:
	s_andn2_b64 vcc, exec, s[4:5]
	s_mov_b64 s[4:5], 0
	s_cbranch_vccnz .LBB9_1545
; %bb.1537:
	s_cmp_gt_i32 s18, 14
	s_cbranch_scc0 .LBB9_1540
; %bb.1538:
	s_cmp_eq_u32 s18, 15
	s_cbranch_scc0 .LBB9_1541
; %bb.1539:
	global_load_ushort v9, v[7:8], off
	s_mov_b64 s[0:1], 0
	s_mov_b64 s[6:7], -1
	s_waitcnt vmcnt(0)
	v_lshlrev_b32_e32 v9, 16, v9
	v_cvt_f64_f32_e32 v[11:12], v9
	s_branch .LBB9_1542
.LBB9_1540:
	s_mov_b64 s[12:13], -1
                                        ; implicit-def: $vgpr11_vgpr12
	s_branch .LBB9_1543
.LBB9_1541:
	s_mov_b64 s[0:1], -1
                                        ; implicit-def: $vgpr11_vgpr12
.LBB9_1542:
	s_mov_b64 s[12:13], 0
.LBB9_1543:
	s_and_b64 vcc, exec, s[12:13]
	s_cbranch_vccz .LBB9_1545
; %bb.1544:
	s_cmp_lg_u32 s18, 11
	s_mov_b64 s[4:5], -1
	s_cselect_b64 s[0:1], -1, 0
.LBB9_1545:
	s_and_b64 vcc, exec, s[0:1]
	s_cbranch_vccnz .LBB9_1620
; %bb.1546:
	s_andn2_b64 vcc, exec, s[4:5]
	s_cbranch_vccnz .LBB9_1548
.LBB9_1547:
	global_load_ubyte v9, v[7:8], off
	v_mov_b32_e32 v12, 0x3ff00000
	v_mov_b32_e32 v11, 0
	s_mov_b64 s[6:7], -1
	s_waitcnt vmcnt(0)
	v_cmp_ne_u16_e32 vcc, 0, v9
	v_cndmask_b32_e32 v12, 0, v12, vcc
.LBB9_1548:
	s_branch .LBB9_1476
.LBB9_1549:
	s_and_b32 s4, 0xffff, s17
	s_cmp_lt_i32 s4, 5
	s_cbranch_scc1 .LBB9_1554
; %bb.1550:
	s_cmp_lt_i32 s4, 8
	s_cbranch_scc1 .LBB9_1555
; %bb.1551:
	s_cmp_lt_i32 s4, 9
	s_cbranch_scc1 .LBB9_1556
; %bb.1552:
	s_cmp_gt_i32 s4, 9
	s_cbranch_scc0 .LBB9_1557
; %bb.1553:
	global_load_dwordx2 v[11:12], v[7:8], off
	s_mov_b64 s[0:1], 0
	s_branch .LBB9_1558
.LBB9_1554:
	s_mov_b64 s[0:1], -1
                                        ; implicit-def: $vgpr11_vgpr12
	s_branch .LBB9_1576
.LBB9_1555:
	s_mov_b64 s[0:1], -1
                                        ; implicit-def: $vgpr11_vgpr12
	s_branch .LBB9_1564
.LBB9_1556:
	s_mov_b64 s[0:1], -1
                                        ; implicit-def: $vgpr11_vgpr12
	s_branch .LBB9_1561
.LBB9_1557:
	s_mov_b64 s[0:1], -1
                                        ; implicit-def: $vgpr11_vgpr12
.LBB9_1558:
	s_andn2_b64 vcc, exec, s[0:1]
	s_cbranch_vccnz .LBB9_1560
; %bb.1559:
	global_load_dword v9, v[7:8], off
	s_waitcnt vmcnt(0)
	v_cvt_f64_f32_e32 v[11:12], v9
.LBB9_1560:
	s_mov_b64 s[0:1], 0
.LBB9_1561:
	s_andn2_b64 vcc, exec, s[0:1]
	s_cbranch_vccnz .LBB9_1563
; %bb.1562:
	global_load_dword v9, v[7:8], off
	s_waitcnt vmcnt(0)
	v_cvt_f32_f16_e32 v9, v9
	v_cvt_f64_f32_e32 v[11:12], v9
.LBB9_1563:
	s_mov_b64 s[0:1], 0
.LBB9_1564:
	s_andn2_b64 vcc, exec, s[0:1]
	s_cbranch_vccnz .LBB9_1575
; %bb.1565:
	s_cmp_lt_i32 s4, 6
	s_cbranch_scc1 .LBB9_1568
; %bb.1566:
	s_cmp_gt_i32 s4, 6
	s_cbranch_scc0 .LBB9_1569
; %bb.1567:
	global_load_dwordx2 v[11:12], v[7:8], off
	s_mov_b64 s[0:1], 0
	s_branch .LBB9_1570
.LBB9_1568:
	s_mov_b64 s[0:1], -1
                                        ; implicit-def: $vgpr11_vgpr12
	s_branch .LBB9_1573
.LBB9_1569:
	s_mov_b64 s[0:1], -1
                                        ; implicit-def: $vgpr11_vgpr12
.LBB9_1570:
	s_andn2_b64 vcc, exec, s[0:1]
	s_cbranch_vccnz .LBB9_1572
; %bb.1571:
	global_load_dword v9, v[7:8], off
	s_waitcnt vmcnt(0)
	v_cvt_f64_f32_e32 v[11:12], v9
.LBB9_1572:
	s_mov_b64 s[0:1], 0
.LBB9_1573:
	s_andn2_b64 vcc, exec, s[0:1]
	s_cbranch_vccnz .LBB9_1575
; %bb.1574:
	global_load_ushort v9, v[7:8], off
	s_waitcnt vmcnt(0)
	v_cvt_f32_f16_e32 v9, v9
	v_cvt_f64_f32_e32 v[11:12], v9
.LBB9_1575:
	s_mov_b64 s[0:1], 0
.LBB9_1576:
	s_andn2_b64 vcc, exec, s[0:1]
	s_cbranch_vccnz .LBB9_1596
; %bb.1577:
	s_cmp_lt_i32 s4, 2
	s_cbranch_scc1 .LBB9_1581
; %bb.1578:
	s_cmp_lt_i32 s4, 3
	s_cbranch_scc1 .LBB9_1582
; %bb.1579:
	s_cmp_gt_i32 s4, 3
	s_cbranch_scc0 .LBB9_1583
; %bb.1580:
	global_load_dwordx2 v[11:12], v[7:8], off
	s_mov_b64 s[0:1], 0
	s_waitcnt vmcnt(0)
	v_cvt_f64_i32_e32 v[12:13], v12
	v_cvt_f64_u32_e32 v[15:16], v11
	v_ldexp_f64 v[12:13], v[12:13], 32
	v_add_f64 v[11:12], v[12:13], v[15:16]
	s_branch .LBB9_1584
.LBB9_1581:
	s_mov_b64 s[0:1], -1
                                        ; implicit-def: $vgpr11_vgpr12
	s_branch .LBB9_1590
.LBB9_1582:
	s_mov_b64 s[0:1], -1
                                        ; implicit-def: $vgpr11_vgpr12
	s_branch .LBB9_1587
.LBB9_1583:
	s_mov_b64 s[0:1], -1
                                        ; implicit-def: $vgpr11_vgpr12
.LBB9_1584:
	s_andn2_b64 vcc, exec, s[0:1]
	s_cbranch_vccnz .LBB9_1586
; %bb.1585:
	global_load_dword v9, v[7:8], off
	s_waitcnt vmcnt(0)
	v_cvt_f64_i32_e32 v[11:12], v9
.LBB9_1586:
	s_mov_b64 s[0:1], 0
.LBB9_1587:
	s_andn2_b64 vcc, exec, s[0:1]
	s_cbranch_vccnz .LBB9_1589
; %bb.1588:
	global_load_sshort v9, v[7:8], off
	s_waitcnt vmcnt(0)
	v_cvt_f64_i32_e32 v[11:12], v9
.LBB9_1589:
	s_mov_b64 s[0:1], 0
.LBB9_1590:
	s_andn2_b64 vcc, exec, s[0:1]
	s_cbranch_vccnz .LBB9_1596
; %bb.1591:
	s_cmp_gt_i32 s4, 0
	s_cbranch_scc0 .LBB9_1593
; %bb.1592:
	global_load_sbyte v9, v[7:8], off
	s_mov_b64 s[0:1], 0
	s_waitcnt vmcnt(0)
	v_cvt_f64_i32_e32 v[11:12], v9
	s_branch .LBB9_1594
.LBB9_1593:
	s_mov_b64 s[0:1], -1
                                        ; implicit-def: $vgpr11_vgpr12
.LBB9_1594:
	s_andn2_b64 vcc, exec, s[0:1]
	s_cbranch_vccnz .LBB9_1596
; %bb.1595:
	global_load_ubyte v7, v[7:8], off
	s_waitcnt vmcnt(0)
	v_cvt_f64_u32_e32 v[11:12], v7
.LBB9_1596:
.LBB9_1597:
	s_mov_b32 s0, 0
	s_mov_b32 s1, 0x40200000
	s_waitcnt vmcnt(0)
	v_cmp_le_f64_e64 s[0:1], |v[11:12]|, s[0:1]
                                        ; implicit-def: $vgpr8_vgpr9
	s_and_saveexec_b64 s[4:5], s[0:1]
	s_xor_b64 s[0:1], exec, s[4:5]
	s_cbranch_execz .LBB9_1603
; %bb.1598:
	v_fma_f64 v[7:8], |v[11:12]|, 0.5, -2.0
	v_mov_b32_e32 v15, 0xc38a0576
	v_mov_b32_e32 v16, 0xbc7857d0
	s_mov_b32 s5, 0x3c499f2a
	s_mov_b32 s4, 0xc3c4014
	;; [unrolled: 1-line block ×4, first 2 shown]
	v_mov_b32_e32 v23, 0xfca7ab0c
	v_fma_f64 v[15:16], v[7:8], s[4:5], v[15:16]
	s_mov_b32 s5, 0xbc499f2a
	v_mov_b32_e32 v24, 0x3e928af3
	v_cmp_ngt_f64_e32 vcc, 0, v[11:12]
	v_fma_f64 v[17:18], v[7:8], v[15:16], s[4:5]
	s_mov_b32 s4, 0xe593bfac
	s_mov_b32 s5, 0x3ca663e3
	v_add_f64 v[17:18], v[17:18], s[4:5]
	s_mov_b32 s4, 0x7e0d1573
	s_mov_b32 s5, 0xbcd3eaaa
	v_fma_f64 v[15:16], v[7:8], v[17:18], -v[15:16]
	v_add_f64 v[15:16], v[15:16], s[4:5]
	s_mov_b32 s4, 0x615290c
	s_mov_b32 s5, 0x3d011d7f
	v_fma_f64 v[17:18], v[7:8], v[15:16], -v[17:18]
	;; [unrolled: 4-line block ×20, first 2 shown]
	v_add_f64 v[17:18], v[17:18], s[4:5]
	s_mov_b32 s4, 0x652b82fe
	s_mov_b32 s5, 0x3ff71547
	v_mul_f64 v[19:20], |v[11:12]|, s[4:5]
	s_mov_b32 s4, 0x7913a26a
	s_mov_b32 s5, 0xbf85a29f
	v_fma_f64 v[15:16], v[7:8], v[17:18], -v[15:16]
	v_rndne_f64_e32 v[19:20], v[19:20]
	v_add_f64 v[15:16], v[15:16], s[4:5]
	s_mov_b32 s4, 0xfefa39ef
	s_mov_b32 s5, 0xbfe62e42
	v_fma_f64 v[21:22], v[19:20], s[4:5], |v[11:12]|
	s_mov_b32 s4, 0xe7bb2349
	s_mov_b32 s5, 0x3f9951e3
	v_fma_f64 v[17:18], v[7:8], v[15:16], -v[17:18]
	v_fma_f64 v[21:22], v[19:20], s[6:7], v[21:22]
	s_mov_b32 s6, 0x623fde64
	s_mov_b32 s7, 0x3ec71dee
	v_add_f64 v[17:18], v[17:18], s[4:5]
	s_mov_b32 s4, 0x6a5dcb37
	s_mov_b32 s5, 0x3e5ade15
	v_fma_f64 v[23:24], v[21:22], s[4:5], v[23:24]
	s_mov_b32 s4, 0x537c9ebc
	s_mov_b32 s5, 0xbfab1bbc
	v_fma_f64 v[15:16], v[7:8], v[17:18], -v[15:16]
	v_fma_f64 v[23:24], v[21:22], v[23:24], s[6:7]
	s_mov_b32 s6, 0x14761f6e
	s_mov_b32 s7, 0x3f2a01a0
	v_add_f64 v[15:16], v[15:16], s[4:5]
	s_mov_b32 s4, 0x7c89e6b0
	s_mov_b32 s5, 0x3efa0199
	v_fma_f64 v[23:24], v[21:22], v[23:24], s[4:5]
	;; [unrolled: 10-line block ×3, first 2 shown]
	s_mov_b32 s4, 0x469192e
	s_mov_b32 s5, 0xbfc694d1
	v_fma_f64 v[15:16], v[7:8], v[17:18], -v[15:16]
	v_fma_f64 v[23:24], v[21:22], v[23:24], s[6:7]
	s_mov_b32 s6, 0x55555511
	s_mov_b32 s7, 0x3fc55555
	v_add_f64 v[15:16], v[15:16], s[4:5]
	s_mov_b32 s4, 0x555502a1
	s_mov_b32 s5, 0x3fa55555
	v_fma_f64 v[7:8], v[7:8], v[15:16], -v[17:18]
	v_fma_f64 v[15:16], v[21:22], v[23:24], s[4:5]
	s_mov_b32 s4, 0x724a7ffa
	s_mov_b32 s5, 0x3fd02a63
	v_add_f64 v[7:8], v[7:8], s[4:5]
	v_fma_f64 v[15:16], v[21:22], v[15:16], s[6:7]
	s_mov_b32 s4, 11
	s_mov_b32 s5, 0x3fe00000
	v_add_f64 v[7:8], v[7:8], -v[17:18]
	v_fma_f64 v[15:16], v[21:22], v[15:16], s[4:5]
	v_mul_f64 v[7:8], v[7:8], 0.5
	v_fma_f64 v[17:18], v[21:22], v[15:16], 1.0
	v_mul_f64 v[15:16], |v[11:12]|, v[7:8]
	v_fma_f64 v[17:18], v[21:22], v[17:18], 1.0
	v_cvt_i32_f64_e32 v7, v[19:20]
                                        ; implicit-def: $vgpr8_vgpr9
	s_and_saveexec_b64 s[4:5], vcc
	s_xor_b64 s[4:5], exec, s[4:5]
	s_cbranch_execz .LBB9_1600
; %bb.1599:
	s_mov_b32 s6, 0
	s_mov_b32 s7, 0x40900000
	v_ldexp_f64 v[7:8], v[17:18], v7
	v_cmp_ngt_f64_e64 vcc, |v[11:12]|, s[6:7]
	v_mov_b32_e32 v9, 0x7ff00000
                                        ; implicit-def: $vgpr17_vgpr18
                                        ; implicit-def: $vgpr11_vgpr12
	v_cndmask_b32_e32 v8, v9, v8, vcc
	v_cndmask_b32_e32 v7, 0, v7, vcc
	v_mul_f64 v[8:9], v[7:8], v[15:16]
                                        ; implicit-def: $vgpr7
                                        ; implicit-def: $vgpr15_vgpr16
.LBB9_1600:
	s_andn2_saveexec_b64 s[4:5], s[4:5]
	s_cbranch_execz .LBB9_1602
; %bb.1601:
	s_mov_b32 s6, 0
	s_mov_b32 s7, 0x40900000
	v_ldexp_f64 v[7:8], -v[17:18], v7
	v_cmp_ngt_f64_e64 vcc, |v[11:12]|, s[6:7]
	v_mov_b32_e32 v9, 0xfff00000
	v_cndmask_b32_e32 v8, v9, v8, vcc
	v_cndmask_b32_e32 v7, 0, v7, vcc
	v_mul_f64 v[8:9], v[7:8], v[15:16]
.LBB9_1602:
	s_or_b64 exec, exec, s[4:5]
                                        ; implicit-def: $vgpr11_vgpr12
.LBB9_1603:
	s_andn2_saveexec_b64 s[4:5], s[0:1]
	s_cbranch_execz .LBB9_1609
; %bb.1604:
	s_mov_b32 s0, 0
	v_and_b32_e32 v8, 0x7fffffff, v12
	v_mov_b32_e32 v7, v11
	s_mov_b32 s1, 0x40400000
	v_div_scale_f64 v[15:16], s[6:7], v[7:8], v[7:8], s[0:1]
	v_div_scale_f64 v[7:8], vcc, s[0:1], v[7:8], s[0:1]
	v_mov_b32_e32 v23, 0xfca7ab0c
	v_mov_b32_e32 v24, 0x3e928af3
	v_rcp_f64_e32 v[17:18], v[15:16]
	v_fma_f64 v[19:20], -v[15:16], v[17:18], 1.0
	v_fma_f64 v[17:18], v[17:18], v[19:20], v[17:18]
	v_fma_f64 v[19:20], -v[15:16], v[17:18], 1.0
	v_fma_f64 v[17:18], v[17:18], v[19:20], v[17:18]
	v_mul_f64 v[19:20], v[7:8], v[17:18]
	v_fma_f64 v[7:8], -v[15:16], v[19:20], v[7:8]
	v_mov_b32_e32 v15, 0xea87b950
	v_mov_b32_e32 v16, 0x3c545b8a
	v_div_fmas_f64 v[7:8], v[7:8], v[17:18], v[19:20]
	v_cmp_ngt_f64_e32 vcc, 0, v[11:12]
	v_div_fixup_f64 v[7:8], v[7:8], |v[11:12]|, s[0:1]
	s_mov_b32 s1, 0x3c61556d
	s_mov_b32 s0, 0xb352e8e6
	v_add_f64 v[7:8], v[7:8], -2.0
	v_fma_f64 v[15:16], v[7:8], s[0:1], v[15:16]
	s_mov_b32 s1, 0xbc61556d
	v_fma_f64 v[17:18], v[7:8], v[15:16], s[0:1]
	s_mov_b32 s0, 0xb2532277
	s_mov_b32 s1, 0xbc8acea3
	v_add_f64 v[17:18], v[17:18], s[0:1]
	s_mov_b32 s0, 0x9c773320
	s_mov_b32 s1, 0xbc82806c
	v_fma_f64 v[15:16], v[7:8], v[17:18], -v[15:16]
	v_add_f64 v[15:16], v[15:16], s[0:1]
	s_mov_b32 s0, 0xfceb588a
	s_mov_b32 s1, 0x3cb55915
	v_fma_f64 v[17:18], v[7:8], v[15:16], -v[17:18]
	v_add_f64 v[17:18], v[17:18], s[0:1]
	s_mov_b32 s0, 0x5f04a2d1
	s_mov_b32 s1, 0x3cb7d68e
	v_fma_f64 v[15:16], v[7:8], v[17:18], -v[15:16]
	v_add_f64 v[15:16], v[15:16], s[0:1]
	s_mov_b32 s0, 0x8bc4d22a
	s_mov_b32 s1, 0xbce0efcd
	v_fma_f64 v[17:18], v[7:8], v[15:16], -v[17:18]
	v_add_f64 v[17:18], v[17:18], s[0:1]
	s_mov_b32 s0, 0x138afbc7
	s_mov_b32 s1, 0xbcf12db5
	v_fma_f64 v[15:16], v[7:8], v[17:18], -v[15:16]
	v_add_f64 v[15:16], v[15:16], s[0:1]
	s_mov_b32 s0, 0x762d31e8
	s_mov_b32 s1, 0x3d0776e1
	v_fma_f64 v[17:18], v[7:8], v[15:16], -v[17:18]
	v_add_f64 v[17:18], v[17:18], s[0:1]
	s_mov_b32 s0, 0x26b3281e
	s_mov_b32 s1, 0x3d280d3c
	v_fma_f64 v[15:16], v[7:8], v[17:18], -v[15:16]
	v_add_f64 v[15:16], v[15:16], s[0:1]
	s_mov_b32 s0, 0x2e6d22a0
	s_mov_b32 s1, 0xbd17a948
	v_fma_f64 v[17:18], v[7:8], v[15:16], -v[17:18]
	v_add_f64 v[17:18], v[17:18], s[0:1]
	s_mov_b32 s0, 0x8e73e255
	s_mov_b32 s1, 0xbd5cbc45
	v_fma_f64 v[15:16], v[7:8], v[17:18], -v[15:16]
	v_add_f64 v[15:16], v[15:16], s[0:1]
	s_mov_b32 s0, 0x76ab493
	s_mov_b32 s1, 0xbd6953e1
	v_fma_f64 v[17:18], v[7:8], v[15:16], -v[17:18]
	v_add_f64 v[17:18], v[17:18], s[0:1]
	s_mov_b32 s0, 0xf6439fa3
	s_mov_b32 s1, 0x3d81e7d3
	v_fma_f64 v[15:16], v[7:8], v[17:18], -v[15:16]
	v_add_f64 v[15:16], v[15:16], s[0:1]
	s_mov_b32 s0, 0x653c457b
	s_mov_b32 s1, 0x3daf101f
	v_fma_f64 v[17:18], v[7:8], v[15:16], -v[17:18]
	v_add_f64 v[17:18], v[17:18], s[0:1]
	s_mov_b32 s0, 0xf1587865
	s_mov_b32 s1, 0x3dc1e1a1
	v_fma_f64 v[15:16], v[7:8], v[17:18], -v[15:16]
	v_add_f64 v[15:16], v[15:16], s[0:1]
	s_mov_b32 s0, 0xd4504c0c
	s_mov_b32 s1, 0xbdb4dcf9
	v_fma_f64 v[17:18], v[7:8], v[15:16], -v[17:18]
	v_add_f64 v[17:18], v[17:18], s[0:1]
	s_mov_b32 s0, 0x652b82fe
	s_mov_b32 s1, 0x3ff71547
	v_mul_f64 v[19:20], |v[11:12]|, s[0:1]
	s_mov_b32 s0, 0x5423dd80
	s_mov_b32 s1, 0xbe0334ca
	v_fma_f64 v[15:16], v[7:8], v[17:18], -v[15:16]
	v_rndne_f64_e32 v[19:20], v[19:20]
	v_add_f64 v[15:16], v[15:16], s[0:1]
	s_mov_b32 s0, 0xfefa39ef
	s_mov_b32 s1, 0xbfe62e42
	v_fma_f64 v[21:22], v[19:20], s[0:1], |v[11:12]|
	s_mov_b32 s0, 0x9ad53528
	s_mov_b32 s1, 0xbe30790b
	v_cvt_i32_f64_e32 v9, v[19:20]
	v_fma_f64 v[17:18], v[7:8], v[15:16], -v[17:18]
	v_add_f64 v[17:18], v[17:18], s[0:1]
	s_mov_b32 s0, 0x3b39803f
	s_mov_b32 s1, 0xbc7abc9e
	v_fma_f64 v[21:22], v[19:20], s[0:1], v[21:22]
	s_mov_b32 s0, 0x6a5dcb37
	s_mov_b32 s1, 0x3e5ade15
	v_fma_f64 v[15:16], v[7:8], v[17:18], -v[15:16]
	v_fma_f64 v[23:24], v[21:22], s[0:1], v[23:24]
	s_mov_b32 s0, 0x94bb46c1
	s_mov_b32 s1, 0xbe5c4153
	v_add_f64 v[15:16], v[15:16], s[0:1]
	s_mov_b32 s0, 0x623fde64
	s_mov_b32 s1, 0x3ec71dee
	v_fma_f64 v[23:24], v[21:22], v[23:24], s[0:1]
	s_mov_b32 s0, 0x7c89e6b0
	s_mov_b32 s1, 0x3efa0199
	v_fma_f64 v[17:18], v[7:8], v[15:16], -v[17:18]
	v_fma_f64 v[23:24], v[21:22], v[23:24], s[0:1]
	s_mov_b32 s0, 0x2e9e5443
	s_mov_b32 s1, 0xbe90dbfd
	;; [unrolled: 10-line block ×5, first 2 shown]
	v_add_f64 v[15:16], v[15:16], s[0:1]
	s_mov_b32 s0, 0xb55b1514
	s_mov_b32 s1, 0x3fe8ea18
	v_fma_f64 v[23:24], v[21:22], v[23:24], 1.0
	v_fma_f64 v[7:8], v[7:8], v[15:16], -v[17:18]
	v_fma_f64 v[15:16], v[21:22], v[23:24], 1.0
	v_add_f64 v[7:8], v[7:8], s[0:1]
	s_mov_b32 s0, 0
	s_mov_b32 s1, 0x40900000
	v_ldexp_f64 v[15:16], v[15:16], v9
	v_cmp_ngt_f64_e64 s[0:1], |v[11:12]|, s[0:1]
	v_mov_b32_e32 v9, 0x7ff00000
	v_add_f64 v[17:18], v[7:8], -v[17:18]
	v_cndmask_b32_e64 v16, v9, v16, s[0:1]
	v_cndmask_b32_e64 v15, 0, v15, s[0:1]
                                        ; implicit-def: $vgpr8_vgpr9
	s_and_saveexec_b64 s[0:1], vcc
	s_xor_b64 s[0:1], exec, s[0:1]
	s_cbranch_execz .LBB9_1606
; %bb.1605:
	s_mov_b32 s6, 0
	s_brev_b32 s7, 8
	v_cmp_lt_f64_e64 vcc, |v[11:12]|, s[6:7]
	v_mov_b32_e32 v7, 0x100
	v_mul_f64 v[17:18], v[17:18], 0.5
	v_mov_b32_e32 v9, 0xffffff80
	v_mov_b32_e32 v13, 0x260
	v_cndmask_b32_e32 v7, 0, v7, vcc
	v_ldexp_f64 v[7:8], |v[11:12]|, v7
	v_cndmask_b32_e32 v9, 0, v9, vcc
	v_mul_f64 v[15:16], v[15:16], v[17:18]
	v_rsq_f64_e32 v[11:12], v[7:8]
	v_cmp_class_f64_e32 vcc, v[7:8], v13
	v_mul_f64 v[19:20], v[7:8], v[11:12]
	v_mul_f64 v[11:12], v[11:12], 0.5
	v_fma_f64 v[21:22], -v[11:12], v[19:20], 0.5
	v_fma_f64 v[19:20], v[19:20], v[21:22], v[19:20]
	v_fma_f64 v[11:12], v[11:12], v[21:22], v[11:12]
	v_fma_f64 v[21:22], -v[19:20], v[19:20], v[7:8]
	v_fma_f64 v[19:20], v[21:22], v[11:12], v[19:20]
	v_fma_f64 v[21:22], -v[19:20], v[19:20], v[7:8]
	v_fma_f64 v[11:12], v[21:22], v[11:12], v[19:20]
	v_ldexp_f64 v[11:12], v[11:12], v9
	v_cndmask_b32_e32 v8, v12, v8, vcc
	v_cndmask_b32_e32 v7, v11, v7, vcc
	v_div_scale_f64 v[11:12], s[6:7], v[7:8], v[7:8], v[15:16]
	v_div_scale_f64 v[21:22], vcc, v[15:16], v[7:8], v[15:16]
	v_rcp_f64_e32 v[17:18], v[11:12]
	v_fma_f64 v[19:20], -v[11:12], v[17:18], 1.0
	v_fma_f64 v[17:18], v[17:18], v[19:20], v[17:18]
	v_fma_f64 v[19:20], -v[11:12], v[17:18], 1.0
	v_fma_f64 v[17:18], v[17:18], v[19:20], v[17:18]
	v_mul_f64 v[19:20], v[21:22], v[17:18]
	v_fma_f64 v[11:12], -v[11:12], v[19:20], v[21:22]
	v_div_fmas_f64 v[11:12], v[11:12], v[17:18], v[19:20]
                                        ; implicit-def: $vgpr17_vgpr18
	v_div_fixup_f64 v[8:9], v[11:12], v[7:8], v[15:16]
                                        ; implicit-def: $vgpr11_vgpr12
                                        ; implicit-def: $vgpr15_vgpr16
.LBB9_1606:
	s_andn2_saveexec_b64 s[0:1], s[0:1]
	s_cbranch_execz .LBB9_1608
; %bb.1607:
	s_mov_b32 s6, 0
	s_brev_b32 s7, 8
	v_cmp_lt_f64_e64 vcc, |v[11:12]|, s[6:7]
	v_mov_b32_e32 v7, 0x100
	v_mul_f64 v[17:18], v[17:18], -0.5
	v_mov_b32_e32 v9, 0xffffff80
	v_mov_b32_e32 v13, 0x260
	v_cndmask_b32_e32 v7, 0, v7, vcc
	v_ldexp_f64 v[7:8], |v[11:12]|, v7
	v_cndmask_b32_e32 v9, 0, v9, vcc
	v_mul_f64 v[15:16], v[15:16], v[17:18]
	v_rsq_f64_e32 v[11:12], v[7:8]
	v_cmp_class_f64_e32 vcc, v[7:8], v13
	v_mul_f64 v[19:20], v[7:8], v[11:12]
	v_mul_f64 v[11:12], v[11:12], 0.5
	v_fma_f64 v[21:22], -v[11:12], v[19:20], 0.5
	v_fma_f64 v[19:20], v[19:20], v[21:22], v[19:20]
	v_fma_f64 v[11:12], v[11:12], v[21:22], v[11:12]
	v_fma_f64 v[21:22], -v[19:20], v[19:20], v[7:8]
	v_fma_f64 v[19:20], v[21:22], v[11:12], v[19:20]
	v_fma_f64 v[21:22], -v[19:20], v[19:20], v[7:8]
	v_fma_f64 v[11:12], v[21:22], v[11:12], v[19:20]
	v_ldexp_f64 v[11:12], v[11:12], v9
	v_cndmask_b32_e32 v8, v12, v8, vcc
	v_cndmask_b32_e32 v7, v11, v7, vcc
	v_div_scale_f64 v[11:12], s[6:7], v[7:8], v[7:8], v[15:16]
	v_div_scale_f64 v[21:22], vcc, v[15:16], v[7:8], v[15:16]
	v_rcp_f64_e32 v[17:18], v[11:12]
	v_fma_f64 v[19:20], -v[11:12], v[17:18], 1.0
	v_fma_f64 v[17:18], v[17:18], v[19:20], v[17:18]
	v_fma_f64 v[19:20], -v[11:12], v[17:18], 1.0
	v_fma_f64 v[17:18], v[17:18], v[19:20], v[17:18]
	v_mul_f64 v[19:20], v[21:22], v[17:18]
	v_fma_f64 v[11:12], -v[11:12], v[19:20], v[21:22]
	v_div_fmas_f64 v[11:12], v[11:12], v[17:18], v[19:20]
	v_div_fixup_f64 v[8:9], v[11:12], v[7:8], v[15:16]
.LBB9_1608:
	s_or_b64 exec, exec, s[0:1]
.LBB9_1609:
	s_or_b64 exec, exec, s[4:5]
	v_mov_b32_e32 v7, s11
	v_add_co_u32_e32 v11, vcc, s10, v3
	s_cmp_lt_i32 s17, 11
	v_addc_co_u32_e32 v12, vcc, 0, v7, vcc
	s_cbranch_scc1 .LBB9_1616
; %bb.1610:
	s_and_b32 s14, 0xffff, s17
	s_cmp_gt_i32 s14, 25
	s_mov_b64 s[4:5], 0
	s_cbranch_scc0 .LBB9_1617
; %bb.1611:
	s_cmp_gt_i32 s14, 28
	s_cbranch_scc0 .LBB9_1618
; %bb.1612:
	s_cmp_gt_i32 s14, 43
	;; [unrolled: 3-line block ×3, first 2 shown]
	s_cbranch_scc0 .LBB9_1621
; %bb.1614:
	s_cmp_eq_u32 s14, 46
	s_mov_b64 s[10:11], 0
	s_cbranch_scc0 .LBB9_1622
; %bb.1615:
	global_load_dword v3, v[11:12], off
	s_mov_b64 s[0:1], 0
	s_mov_b64 s[6:7], -1
	s_waitcnt vmcnt(0)
	v_lshlrev_b32_e32 v3, 16, v3
	v_cvt_f64_f32_e32 v[15:16], v3
	s_branch .LBB9_1623
.LBB9_1616:
	s_mov_b64 s[0:1], -1
	s_mov_b64 s[6:7], 0
                                        ; implicit-def: $vgpr15_vgpr16
	s_branch .LBB9_1689
.LBB9_1617:
	s_mov_b64 s[10:11], -1
	s_mov_b64 s[6:7], 0
	s_mov_b64 s[0:1], 0
                                        ; implicit-def: $vgpr15_vgpr16
	s_branch .LBB9_1654
.LBB9_1618:
	s_mov_b64 s[10:11], -1
	s_mov_b64 s[6:7], 0
	s_mov_b64 s[0:1], 0
                                        ; implicit-def: $vgpr15_vgpr16
	s_branch .LBB9_1633
.LBB9_1619:
	s_mov_b64 s[10:11], -1
	s_mov_b64 s[6:7], 0
	s_mov_b64 s[0:1], 0
                                        ; implicit-def: $vgpr15_vgpr16
	s_branch .LBB9_1628
.LBB9_1620:
	s_trap 2
	s_or_b64 s[2:3], s[2:3], exec
	s_cbranch_execz .LBB9_1547
	s_branch .LBB9_1548
.LBB9_1621:
	s_mov_b64 s[10:11], -1
	s_mov_b64 s[6:7], 0
	s_mov_b64 s[0:1], 0
                                        ; implicit-def: $vgpr15_vgpr16
	s_branch .LBB9_1623
.LBB9_1622:
	s_mov_b64 s[0:1], -1
                                        ; implicit-def: $vgpr15_vgpr16
	s_mov_b64 s[6:7], 0
.LBB9_1623:
	s_and_b64 vcc, exec, s[10:11]
	s_cbranch_vccz .LBB9_1627
; %bb.1624:
	s_cmp_eq_u32 s14, 44
	s_cbranch_scc0 .LBB9_1626
; %bb.1625:
	global_load_ubyte v3, v[11:12], off
	s_movk_i32 s6, 0xff
	v_bfrev_b32_e32 v7, 4
	v_mov_b32_e32 v13, 0x7ff80000
	v_bfrev_b32_e32 v17, 28
	s_mov_b64 s[0:1], 0
	s_waitcnt vmcnt(0)
	v_lshlrev_b32_e32 v15, 23, v3
	v_cvt_f64_f32_e32 v[15:16], v15
	v_cmp_ne_u32_e32 vcc, s6, v3
	s_mov_b64 s[6:7], -1
	v_cndmask_b32_e32 v7, v7, v15, vcc
	v_cndmask_b32_e32 v13, v13, v16, vcc
	v_cmp_ne_u32_e32 vcc, 0, v3
	v_cndmask_b32_e32 v16, v17, v13, vcc
	v_cndmask_b32_e32 v15, 0, v7, vcc
	s_branch .LBB9_1627
.LBB9_1626:
	s_mov_b64 s[0:1], -1
                                        ; implicit-def: $vgpr15_vgpr16
.LBB9_1627:
	s_mov_b64 s[10:11], 0
.LBB9_1628:
	s_and_b64 vcc, exec, s[10:11]
	s_cbranch_vccz .LBB9_1632
; %bb.1629:
	s_cmp_eq_u32 s14, 29
	s_cbranch_scc0 .LBB9_1631
; %bb.1630:
	global_load_dwordx2 v[15:16], v[11:12], off
	s_mov_b64 s[0:1], 0
	s_mov_b64 s[6:7], -1
	s_mov_b64 s[10:11], 0
	s_waitcnt vmcnt(0)
	v_cvt_f64_u32_e32 v[16:17], v16
	v_cvt_f64_u32_e32 v[18:19], v15
	v_ldexp_f64 v[16:17], v[16:17], 32
	v_add_f64 v[15:16], v[16:17], v[18:19]
	s_branch .LBB9_1633
.LBB9_1631:
	s_mov_b64 s[0:1], -1
                                        ; implicit-def: $vgpr15_vgpr16
.LBB9_1632:
	s_mov_b64 s[10:11], 0
.LBB9_1633:
	s_and_b64 vcc, exec, s[10:11]
	s_cbranch_vccz .LBB9_1653
; %bb.1634:
	s_cmp_lt_i32 s14, 27
	s_cbranch_scc1 .LBB9_1637
; %bb.1635:
	s_cmp_gt_i32 s14, 27
	s_cbranch_scc0 .LBB9_1638
; %bb.1636:
	global_load_dword v3, v[11:12], off
	s_mov_b64 s[6:7], 0
	s_waitcnt vmcnt(0)
	v_cvt_f64_u32_e32 v[15:16], v3
	s_branch .LBB9_1639
.LBB9_1637:
	s_mov_b64 s[6:7], -1
                                        ; implicit-def: $vgpr15_vgpr16
	s_branch .LBB9_1642
.LBB9_1638:
	s_mov_b64 s[6:7], -1
                                        ; implicit-def: $vgpr15_vgpr16
.LBB9_1639:
	s_andn2_b64 vcc, exec, s[6:7]
	s_cbranch_vccnz .LBB9_1641
; %bb.1640:
	global_load_ushort v3, v[11:12], off
	s_waitcnt vmcnt(0)
	v_cvt_f64_u32_e32 v[15:16], v3
.LBB9_1641:
	s_mov_b64 s[6:7], 0
.LBB9_1642:
	s_andn2_b64 vcc, exec, s[6:7]
	s_cbranch_vccnz .LBB9_1652
; %bb.1643:
	global_load_ubyte v3, v[11:12], off
	s_movk_i32 s6, 0x7f
	s_waitcnt vmcnt(0)
	v_cmp_lt_i16_e32 vcc, s6, v3
	s_mov_b64 s[6:7], 0
	s_and_saveexec_b64 s[10:11], vcc
	s_xor_b64 s[10:11], exec, s[10:11]
	s_cbranch_execz .LBB9_1647
; %bb.1644:
	s_movk_i32 s6, 0x80
	v_cmp_eq_u16_e32 vcc, s6, v3
	s_mov_b64 s[6:7], -1
	s_and_saveexec_b64 s[12:13], vcc
; %bb.1645:
	s_xor_b64 s[6:7], exec, -1
; %bb.1646:
	s_or_b64 exec, exec, s[12:13]
	s_and_b64 s[6:7], s[6:7], exec
.LBB9_1647:
	s_or_saveexec_b64 s[10:11], s[10:11]
	v_bfrev_b32_e32 v15, 4
	v_mov_b32_e32 v16, 0x7ff80000
	s_xor_b64 exec, exec, s[10:11]
; %bb.1648:
	v_cmp_ne_u16_e32 vcc, 0, v3
	v_mov_b32_e32 v15, 0
	s_andn2_b64 s[6:7], s[6:7], exec
	s_and_b64 s[12:13], vcc, exec
	v_mov_b32_e32 v16, 0
	s_or_b64 s[6:7], s[6:7], s[12:13]
; %bb.1649:
	s_or_b64 exec, exec, s[10:11]
	s_and_saveexec_b64 s[10:11], s[6:7]
	s_cbranch_execz .LBB9_1651
; %bb.1650:
	v_lshlrev_b32_e32 v7, 24, v3
	v_and_b32_e32 v3, 0xffff, v3
	v_and_b32_e32 v13, 7, v3
	v_ffbh_u32_e32 v16, v13
	v_min_u32_e32 v16, 32, v16
	v_subrev_u32_e32 v17, 28, v16
	v_bfe_u32 v15, v3, 3, 4
	v_lshlrev_b32_e32 v3, v17, v3
	v_sub_u32_e32 v16, 29, v16
	v_and_b32_e32 v3, 7, v3
	v_cmp_eq_u32_e32 vcc, 0, v15
	v_cndmask_b32_e32 v15, v15, v16, vcc
	v_cndmask_b32_e32 v3, v13, v3, vcc
	v_mov_b32_e32 v13, 0x3b800000
	v_lshlrev_b32_e32 v3, 20, v3
	v_and_b32_e32 v7, 0x80000000, v7
	v_lshl_add_u32 v13, v15, 23, v13
	v_or3_b32 v3, v7, v13, v3
	v_cvt_f64_f32_e32 v[15:16], v3
.LBB9_1651:
	s_or_b64 exec, exec, s[10:11]
.LBB9_1652:
	s_mov_b64 s[6:7], -1
.LBB9_1653:
	s_mov_b64 s[10:11], 0
.LBB9_1654:
	s_and_b64 vcc, exec, s[10:11]
	s_cbranch_vccz .LBB9_1685
; %bb.1655:
	s_cmp_gt_i32 s14, 22
	s_cbranch_scc0 .LBB9_1667
; %bb.1656:
	s_cmp_lt_i32 s14, 24
	s_cbranch_scc1 .LBB9_1668
; %bb.1657:
	s_cmp_gt_i32 s14, 24
	s_cbranch_scc0 .LBB9_1669
; %bb.1658:
	global_load_ubyte v3, v[11:12], off
	s_movk_i32 s4, 0x7f
	s_waitcnt vmcnt(0)
	v_cmp_lt_i16_e32 vcc, s4, v3
	s_mov_b64 s[4:5], 0
	s_and_saveexec_b64 s[6:7], vcc
	s_xor_b64 s[6:7], exec, s[6:7]
	s_cbranch_execz .LBB9_1662
; %bb.1659:
	s_movk_i32 s4, 0x80
	v_cmp_eq_u16_e32 vcc, s4, v3
	s_mov_b64 s[4:5], -1
	s_and_saveexec_b64 s[10:11], vcc
; %bb.1660:
	s_xor_b64 s[4:5], exec, -1
; %bb.1661:
	s_or_b64 exec, exec, s[10:11]
	s_and_b64 s[4:5], s[4:5], exec
.LBB9_1662:
	s_or_saveexec_b64 s[6:7], s[6:7]
	v_bfrev_b32_e32 v15, 4
	v_mov_b32_e32 v16, 0x7ff80000
	s_xor_b64 exec, exec, s[6:7]
; %bb.1663:
	v_cmp_ne_u16_e32 vcc, 0, v3
	v_mov_b32_e32 v15, 0
	s_andn2_b64 s[4:5], s[4:5], exec
	s_and_b64 s[10:11], vcc, exec
	v_mov_b32_e32 v16, 0
	s_or_b64 s[4:5], s[4:5], s[10:11]
; %bb.1664:
	s_or_b64 exec, exec, s[6:7]
	s_and_saveexec_b64 s[6:7], s[4:5]
	s_cbranch_execz .LBB9_1666
; %bb.1665:
	v_lshlrev_b32_e32 v7, 24, v3
	v_and_b32_e32 v3, 0xffff, v3
	v_and_b32_e32 v13, 3, v3
	v_ffbh_u32_e32 v16, v13
	v_min_u32_e32 v16, 32, v16
	v_subrev_u32_e32 v17, 29, v16
	v_bfe_u32 v15, v3, 2, 5
	v_lshlrev_b32_e32 v3, v17, v3
	v_sub_u32_e32 v16, 30, v16
	v_and_b32_e32 v3, 3, v3
	v_cmp_eq_u32_e32 vcc, 0, v15
	v_cndmask_b32_e32 v15, v15, v16, vcc
	v_cndmask_b32_e32 v3, v13, v3, vcc
	v_mov_b32_e32 v13, 0x37800000
	v_lshlrev_b32_e32 v3, 21, v3
	v_and_b32_e32 v7, 0x80000000, v7
	v_lshl_add_u32 v13, v15, 23, v13
	v_or3_b32 v3, v7, v13, v3
	v_cvt_f64_f32_e32 v[15:16], v3
.LBB9_1666:
	s_or_b64 exec, exec, s[6:7]
	s_mov_b64 s[4:5], 0
	s_branch .LBB9_1670
.LBB9_1667:
	s_mov_b64 s[4:5], -1
                                        ; implicit-def: $vgpr15_vgpr16
	s_branch .LBB9_1676
.LBB9_1668:
	s_mov_b64 s[4:5], -1
                                        ; implicit-def: $vgpr15_vgpr16
	s_branch .LBB9_1673
.LBB9_1669:
	s_mov_b64 s[4:5], -1
                                        ; implicit-def: $vgpr15_vgpr16
.LBB9_1670:
	s_and_b64 vcc, exec, s[4:5]
	s_cbranch_vccz .LBB9_1672
; %bb.1671:
	global_load_ubyte v3, v[11:12], off
	s_mov_b32 s4, 0x7f800000
	s_waitcnt vmcnt(0)
	v_lshlrev_b32_e32 v3, 24, v3
	v_and_b32_e32 v7, 0x7f000000, v3
	v_ffbh_u32_e32 v13, v7
	v_min_u32_e32 v13, 32, v13
	v_sub_u32_e64 v13, v13, 4 clamp
	v_lshlrev_b32_e32 v16, v13, v7
	v_lshlrev_b32_e32 v13, 23, v13
	v_lshrrev_b32_e32 v16, 4, v16
	v_add_u32_e32 v15, 0x1000000, v7
	v_sub_u32_e32 v13, v16, v13
	v_ashrrev_i32_e32 v15, 8, v15
	v_add_u32_e32 v13, 0x3c000000, v13
	v_and_or_b32 v13, v15, s4, v13
	v_cmp_ne_u32_e32 vcc, 0, v7
	v_cndmask_b32_e32 v7, 0, v13, vcc
	s_brev_b32 s4, 1
	v_and_or_b32 v3, v3, s4, v7
	v_cvt_f64_f32_e32 v[15:16], v3
.LBB9_1672:
	s_mov_b64 s[4:5], 0
.LBB9_1673:
	s_andn2_b64 vcc, exec, s[4:5]
	s_cbranch_vccnz .LBB9_1675
; %bb.1674:
	global_load_ubyte v3, v[11:12], off
	s_movk_i32 s4, 0x7f00
	s_brev_b32 s5, 16
	s_waitcnt vmcnt(0)
	v_lshlrev_b16_e32 v7, 8, v3
	v_lshlrev_b32_e32 v3, 25, v3
	v_lshrrev_b32_e32 v13, 4, v3
	v_and_or_b32 v15, v7, s4, 0.5
	v_or_b32_e32 v13, 0x70000000, v13
	v_add_f32_e32 v15, -0.5, v15
	v_mul_f32_e32 v13, 0x7800000, v13
	v_cmp_gt_u32_e32 vcc, s5, v3
	v_bfe_i32 v7, v7, 0, 16
	v_cndmask_b32_e32 v3, v13, v15, vcc
	s_brev_b32 s4, 1
	v_and_or_b32 v3, v7, s4, v3
	v_cvt_f64_f32_e32 v[15:16], v3
.LBB9_1675:
	s_mov_b64 s[4:5], 0
	s_mov_b64 s[6:7], -1
.LBB9_1676:
	s_andn2_b64 vcc, exec, s[4:5]
	s_mov_b64 s[4:5], 0
	s_cbranch_vccnz .LBB9_1685
; %bb.1677:
	s_cmp_gt_i32 s14, 14
	s_cbranch_scc0 .LBB9_1680
; %bb.1678:
	s_cmp_eq_u32 s14, 15
	s_cbranch_scc0 .LBB9_1681
; %bb.1679:
	global_load_ushort v3, v[11:12], off
	s_mov_b64 s[0:1], 0
	s_mov_b64 s[6:7], -1
	s_waitcnt vmcnt(0)
	v_lshlrev_b32_e32 v3, 16, v3
	v_cvt_f64_f32_e32 v[15:16], v3
	s_branch .LBB9_1682
.LBB9_1680:
	s_mov_b64 s[10:11], -1
                                        ; implicit-def: $vgpr15_vgpr16
	s_branch .LBB9_1683
.LBB9_1681:
	s_mov_b64 s[0:1], -1
                                        ; implicit-def: $vgpr15_vgpr16
.LBB9_1682:
	s_mov_b64 s[10:11], 0
.LBB9_1683:
	s_and_b64 vcc, exec, s[10:11]
	s_cbranch_vccz .LBB9_1685
; %bb.1684:
	s_cmp_lg_u32 s14, 11
	s_mov_b64 s[4:5], -1
	s_cselect_b64 s[0:1], -1, 0
.LBB9_1685:
	s_and_b64 vcc, exec, s[0:1]
	s_cbranch_vccnz .LBB9_2232
; %bb.1686:
	s_andn2_b64 vcc, exec, s[4:5]
	s_cbranch_vccnz .LBB9_1688
.LBB9_1687:
	global_load_ubyte v3, v[11:12], off
	v_mov_b32_e32 v7, 0x3ff00000
	v_mov_b32_e32 v15, 0
	s_mov_b64 s[6:7], -1
	s_waitcnt vmcnt(0)
	v_cmp_ne_u16_e32 vcc, 0, v3
	v_cndmask_b32_e32 v16, 0, v7, vcc
.LBB9_1688:
	s_mov_b64 s[0:1], 0
.LBB9_1689:
	s_and_b64 vcc, exec, s[0:1]
	s_cbranch_vccz .LBB9_1738
; %bb.1690:
	s_and_b32 s4, 0xffff, s17
	s_cmp_lt_i32 s4, 5
	s_cbranch_scc1 .LBB9_1695
; %bb.1691:
	s_cmp_lt_i32 s4, 8
	s_cbranch_scc1 .LBB9_1696
; %bb.1692:
	;; [unrolled: 3-line block ×3, first 2 shown]
	s_cmp_gt_i32 s4, 9
	s_cbranch_scc0 .LBB9_1698
; %bb.1694:
	global_load_dwordx2 v[15:16], v[11:12], off
	s_mov_b64 s[0:1], 0
	s_branch .LBB9_1699
.LBB9_1695:
	s_mov_b64 s[0:1], -1
                                        ; implicit-def: $vgpr15_vgpr16
	s_branch .LBB9_1717
.LBB9_1696:
	s_mov_b64 s[0:1], -1
                                        ; implicit-def: $vgpr15_vgpr16
	s_branch .LBB9_1705
.LBB9_1697:
	s_mov_b64 s[0:1], -1
                                        ; implicit-def: $vgpr15_vgpr16
	s_branch .LBB9_1702
.LBB9_1698:
	s_mov_b64 s[0:1], -1
                                        ; implicit-def: $vgpr15_vgpr16
.LBB9_1699:
	s_andn2_b64 vcc, exec, s[0:1]
	s_cbranch_vccnz .LBB9_1701
; %bb.1700:
	global_load_dword v3, v[11:12], off
	s_waitcnt vmcnt(0)
	v_cvt_f64_f32_e32 v[15:16], v3
.LBB9_1701:
	s_mov_b64 s[0:1], 0
.LBB9_1702:
	s_andn2_b64 vcc, exec, s[0:1]
	s_cbranch_vccnz .LBB9_1704
; %bb.1703:
	global_load_dword v3, v[11:12], off
	s_waitcnt vmcnt(0)
	v_cvt_f32_f16_e32 v3, v3
	v_cvt_f64_f32_e32 v[15:16], v3
.LBB9_1704:
	s_mov_b64 s[0:1], 0
.LBB9_1705:
	s_andn2_b64 vcc, exec, s[0:1]
	s_cbranch_vccnz .LBB9_1716
; %bb.1706:
	s_cmp_lt_i32 s4, 6
	s_cbranch_scc1 .LBB9_1709
; %bb.1707:
	s_cmp_gt_i32 s4, 6
	s_cbranch_scc0 .LBB9_1710
; %bb.1708:
	global_load_dwordx2 v[15:16], v[11:12], off
	s_mov_b64 s[0:1], 0
	s_branch .LBB9_1711
.LBB9_1709:
	s_mov_b64 s[0:1], -1
                                        ; implicit-def: $vgpr15_vgpr16
	s_branch .LBB9_1714
.LBB9_1710:
	s_mov_b64 s[0:1], -1
                                        ; implicit-def: $vgpr15_vgpr16
.LBB9_1711:
	s_andn2_b64 vcc, exec, s[0:1]
	s_cbranch_vccnz .LBB9_1713
; %bb.1712:
	global_load_dword v3, v[11:12], off
	s_waitcnt vmcnt(0)
	v_cvt_f64_f32_e32 v[15:16], v3
.LBB9_1713:
	s_mov_b64 s[0:1], 0
.LBB9_1714:
	s_andn2_b64 vcc, exec, s[0:1]
	s_cbranch_vccnz .LBB9_1716
; %bb.1715:
	global_load_ushort v3, v[11:12], off
	s_waitcnt vmcnt(0)
	v_cvt_f32_f16_e32 v3, v3
	v_cvt_f64_f32_e32 v[15:16], v3
.LBB9_1716:
	s_mov_b64 s[0:1], 0
.LBB9_1717:
	s_andn2_b64 vcc, exec, s[0:1]
	s_cbranch_vccnz .LBB9_1737
; %bb.1718:
	s_cmp_lt_i32 s4, 2
	s_cbranch_scc1 .LBB9_1722
; %bb.1719:
	s_cmp_lt_i32 s4, 3
	s_cbranch_scc1 .LBB9_1723
; %bb.1720:
	s_cmp_gt_i32 s4, 3
	s_cbranch_scc0 .LBB9_1724
; %bb.1721:
	global_load_dwordx2 v[15:16], v[11:12], off
	s_mov_b64 s[0:1], 0
	s_waitcnt vmcnt(0)
	v_cvt_f64_i32_e32 v[16:17], v16
	v_cvt_f64_u32_e32 v[18:19], v15
	v_ldexp_f64 v[16:17], v[16:17], 32
	v_add_f64 v[15:16], v[16:17], v[18:19]
	s_branch .LBB9_1725
.LBB9_1722:
	s_mov_b64 s[0:1], -1
                                        ; implicit-def: $vgpr15_vgpr16
	s_branch .LBB9_1731
.LBB9_1723:
	s_mov_b64 s[0:1], -1
                                        ; implicit-def: $vgpr15_vgpr16
	s_branch .LBB9_1728
.LBB9_1724:
	s_mov_b64 s[0:1], -1
                                        ; implicit-def: $vgpr15_vgpr16
.LBB9_1725:
	s_andn2_b64 vcc, exec, s[0:1]
	s_cbranch_vccnz .LBB9_1727
; %bb.1726:
	global_load_dword v3, v[11:12], off
	s_waitcnt vmcnt(0)
	v_cvt_f64_i32_e32 v[15:16], v3
.LBB9_1727:
	s_mov_b64 s[0:1], 0
.LBB9_1728:
	s_andn2_b64 vcc, exec, s[0:1]
	s_cbranch_vccnz .LBB9_1730
; %bb.1729:
	global_load_sshort v3, v[11:12], off
	s_waitcnt vmcnt(0)
	v_cvt_f64_i32_e32 v[15:16], v3
.LBB9_1730:
	s_mov_b64 s[0:1], 0
.LBB9_1731:
	s_andn2_b64 vcc, exec, s[0:1]
	s_cbranch_vccnz .LBB9_1737
; %bb.1732:
	s_cmp_gt_i32 s4, 0
	s_cbranch_scc0 .LBB9_1734
; %bb.1733:
	global_load_sbyte v3, v[11:12], off
	s_mov_b64 s[0:1], 0
	s_waitcnt vmcnt(0)
	v_cvt_f64_i32_e32 v[15:16], v3
	s_branch .LBB9_1735
.LBB9_1734:
	s_mov_b64 s[0:1], -1
                                        ; implicit-def: $vgpr15_vgpr16
.LBB9_1735:
	s_andn2_b64 vcc, exec, s[0:1]
	s_cbranch_vccnz .LBB9_1737
; %bb.1736:
	global_load_ubyte v3, v[11:12], off
	s_waitcnt vmcnt(0)
	v_cvt_f64_u32_e32 v[15:16], v3
.LBB9_1737:
	s_mov_b64 s[6:7], -1
.LBB9_1738:
	s_andn2_b64 vcc, exec, s[6:7]
	s_cbranch_vccnz .LBB9_1829
; %bb.1739:
	s_mov_b32 s0, 0
	s_mov_b32 s1, 0x40200000
	s_waitcnt vmcnt(0)
	v_cmp_le_f64_e64 s[0:1], |v[15:16]|, s[0:1]
                                        ; implicit-def: $vgpr12_vgpr13
	s_and_saveexec_b64 s[4:5], s[0:1]
	s_xor_b64 s[0:1], exec, s[4:5]
	s_cbranch_execz .LBB9_1745
; %bb.1740:
	v_fma_f64 v[11:12], |v[15:16]|, 0.5, -2.0
	v_mov_b32_e32 v17, 0xc38a0576
	v_mov_b32_e32 v18, 0xbc7857d0
	s_mov_b32 s5, 0x3c499f2a
	s_mov_b32 s4, 0xc3c4014
	;; [unrolled: 1-line block ×4, first 2 shown]
	v_mov_b32_e32 v25, 0xfca7ab0c
	v_fma_f64 v[17:18], v[11:12], s[4:5], v[17:18]
	s_mov_b32 s5, 0xbc499f2a
	v_mov_b32_e32 v26, 0x3e928af3
	v_cmp_ngt_f64_e32 vcc, 0, v[15:16]
	v_fma_f64 v[19:20], v[11:12], v[17:18], s[4:5]
	s_mov_b32 s4, 0xe593bfac
	s_mov_b32 s5, 0x3ca663e3
	v_add_f64 v[19:20], v[19:20], s[4:5]
	s_mov_b32 s4, 0x7e0d1573
	s_mov_b32 s5, 0xbcd3eaaa
	v_fma_f64 v[17:18], v[11:12], v[19:20], -v[17:18]
	v_add_f64 v[17:18], v[17:18], s[4:5]
	s_mov_b32 s4, 0x615290c
	s_mov_b32 s5, 0x3d011d7f
	v_fma_f64 v[19:20], v[11:12], v[17:18], -v[19:20]
	;; [unrolled: 4-line block ×20, first 2 shown]
	v_add_f64 v[19:20], v[19:20], s[4:5]
	s_mov_b32 s4, 0x652b82fe
	s_mov_b32 s5, 0x3ff71547
	v_mul_f64 v[21:22], |v[15:16]|, s[4:5]
	s_mov_b32 s4, 0x7913a26a
	s_mov_b32 s5, 0xbf85a29f
	v_fma_f64 v[17:18], v[11:12], v[19:20], -v[17:18]
	v_rndne_f64_e32 v[21:22], v[21:22]
	v_add_f64 v[17:18], v[17:18], s[4:5]
	s_mov_b32 s4, 0xfefa39ef
	s_mov_b32 s5, 0xbfe62e42
	v_fma_f64 v[23:24], v[21:22], s[4:5], |v[15:16]|
	s_mov_b32 s4, 0xe7bb2349
	s_mov_b32 s5, 0x3f9951e3
	v_cvt_i32_f64_e32 v3, v[21:22]
	v_fma_f64 v[19:20], v[11:12], v[17:18], -v[19:20]
	v_fma_f64 v[23:24], v[21:22], s[6:7], v[23:24]
	s_mov_b32 s6, 0x623fde64
	s_mov_b32 s7, 0x3ec71dee
	v_add_f64 v[19:20], v[19:20], s[4:5]
	s_mov_b32 s4, 0x6a5dcb37
	s_mov_b32 s5, 0x3e5ade15
	v_fma_f64 v[25:26], v[23:24], s[4:5], v[25:26]
	s_mov_b32 s4, 0x537c9ebc
	s_mov_b32 s5, 0xbfab1bbc
	v_fma_f64 v[17:18], v[11:12], v[19:20], -v[17:18]
	v_fma_f64 v[25:26], v[23:24], v[25:26], s[6:7]
	s_mov_b32 s6, 0x14761f6e
	s_mov_b32 s7, 0x3f2a01a0
	v_add_f64 v[17:18], v[17:18], s[4:5]
	s_mov_b32 s4, 0x7c89e6b0
	s_mov_b32 s5, 0x3efa0199
	v_fma_f64 v[25:26], v[23:24], v[25:26], s[4:5]
	s_mov_b32 s4, 0xd536f53c
	s_mov_b32 s5, 0x3fba46da
	;; [unrolled: 10-line block ×3, first 2 shown]
	v_fma_f64 v[17:18], v[11:12], v[19:20], -v[17:18]
	v_fma_f64 v[25:26], v[23:24], v[25:26], s[6:7]
	s_mov_b32 s6, 0x55555511
	s_mov_b32 s7, 0x3fc55555
	v_add_f64 v[17:18], v[17:18], s[4:5]
	s_mov_b32 s4, 0x555502a1
	s_mov_b32 s5, 0x3fa55555
	v_fma_f64 v[11:12], v[11:12], v[17:18], -v[19:20]
	v_fma_f64 v[17:18], v[23:24], v[25:26], s[4:5]
	s_mov_b32 s4, 0x724a7ffa
	s_mov_b32 s5, 0x3fd02a63
	v_add_f64 v[11:12], v[11:12], s[4:5]
	v_fma_f64 v[17:18], v[23:24], v[17:18], s[6:7]
	s_mov_b32 s4, 11
	s_mov_b32 s5, 0x3fe00000
	v_add_f64 v[11:12], v[11:12], -v[19:20]
	v_fma_f64 v[17:18], v[23:24], v[17:18], s[4:5]
	v_mul_f64 v[11:12], v[11:12], 0.5
	v_fma_f64 v[19:20], v[23:24], v[17:18], 1.0
	v_mul_f64 v[17:18], |v[15:16]|, v[11:12]
	v_fma_f64 v[19:20], v[23:24], v[19:20], 1.0
                                        ; implicit-def: $vgpr12_vgpr13
	s_and_saveexec_b64 s[4:5], vcc
	s_xor_b64 s[4:5], exec, s[4:5]
	s_cbranch_execz .LBB9_1742
; %bb.1741:
	s_mov_b32 s6, 0
	s_mov_b32 s7, 0x40900000
	v_ldexp_f64 v[11:12], v[19:20], v3
	v_cmp_ngt_f64_e64 vcc, |v[15:16]|, s[6:7]
	v_mov_b32_e32 v3, 0x7ff00000
                                        ; implicit-def: $vgpr19_vgpr20
                                        ; implicit-def: $vgpr15_vgpr16
	v_cndmask_b32_e32 v12, v3, v12, vcc
	v_cndmask_b32_e32 v11, 0, v11, vcc
	v_mul_f64 v[12:13], v[11:12], v[17:18]
                                        ; implicit-def: $vgpr3
                                        ; implicit-def: $vgpr17_vgpr18
.LBB9_1742:
	s_andn2_saveexec_b64 s[4:5], s[4:5]
	s_cbranch_execz .LBB9_1744
; %bb.1743:
	s_mov_b32 s6, 0
	s_mov_b32 s7, 0x40900000
	v_ldexp_f64 v[11:12], -v[19:20], v3
	v_cmp_ngt_f64_e64 vcc, |v[15:16]|, s[6:7]
	v_mov_b32_e32 v3, 0xfff00000
	v_cndmask_b32_e32 v12, v3, v12, vcc
	v_cndmask_b32_e32 v11, 0, v11, vcc
	v_mul_f64 v[12:13], v[11:12], v[17:18]
.LBB9_1744:
	s_or_b64 exec, exec, s[4:5]
                                        ; implicit-def: $vgpr15_vgpr16
.LBB9_1745:
	s_andn2_saveexec_b64 s[4:5], s[0:1]
	s_cbranch_execz .LBB9_1751
; %bb.1746:
	s_mov_b32 s0, 0
	v_and_b32_e32 v12, 0x7fffffff, v16
	v_mov_b32_e32 v11, v15
	s_mov_b32 s1, 0x40400000
	v_div_scale_f64 v[17:18], s[6:7], v[11:12], v[11:12], s[0:1]
	v_div_scale_f64 v[11:12], vcc, s[0:1], v[11:12], s[0:1]
	v_mov_b32_e32 v25, 0xfca7ab0c
	v_mov_b32_e32 v26, 0x3e928af3
	v_rcp_f64_e32 v[19:20], v[17:18]
	v_fma_f64 v[21:22], -v[17:18], v[19:20], 1.0
	v_fma_f64 v[19:20], v[19:20], v[21:22], v[19:20]
	v_fma_f64 v[21:22], -v[17:18], v[19:20], 1.0
	v_fma_f64 v[19:20], v[19:20], v[21:22], v[19:20]
	v_mul_f64 v[21:22], v[11:12], v[19:20]
	v_fma_f64 v[11:12], -v[17:18], v[21:22], v[11:12]
	v_mov_b32_e32 v17, 0xea87b950
	v_mov_b32_e32 v18, 0x3c545b8a
	v_div_fmas_f64 v[11:12], v[11:12], v[19:20], v[21:22]
	v_cmp_ngt_f64_e32 vcc, 0, v[15:16]
	v_div_fixup_f64 v[11:12], v[11:12], |v[15:16]|, s[0:1]
	s_mov_b32 s1, 0x3c61556d
	s_mov_b32 s0, 0xb352e8e6
	v_add_f64 v[11:12], v[11:12], -2.0
	v_fma_f64 v[17:18], v[11:12], s[0:1], v[17:18]
	s_mov_b32 s1, 0xbc61556d
	v_fma_f64 v[19:20], v[11:12], v[17:18], s[0:1]
	s_mov_b32 s0, 0xb2532277
	s_mov_b32 s1, 0xbc8acea3
	v_add_f64 v[19:20], v[19:20], s[0:1]
	s_mov_b32 s0, 0x9c773320
	s_mov_b32 s1, 0xbc82806c
	v_fma_f64 v[17:18], v[11:12], v[19:20], -v[17:18]
	v_add_f64 v[17:18], v[17:18], s[0:1]
	s_mov_b32 s0, 0xfceb588a
	s_mov_b32 s1, 0x3cb55915
	v_fma_f64 v[19:20], v[11:12], v[17:18], -v[19:20]
	;; [unrolled: 4-line block ×14, first 2 shown]
	v_add_f64 v[19:20], v[19:20], s[0:1]
	s_mov_b32 s0, 0x652b82fe
	s_mov_b32 s1, 0x3ff71547
	v_mul_f64 v[21:22], |v[15:16]|, s[0:1]
	s_mov_b32 s0, 0x5423dd80
	s_mov_b32 s1, 0xbe0334ca
	v_fma_f64 v[17:18], v[11:12], v[19:20], -v[17:18]
	v_rndne_f64_e32 v[21:22], v[21:22]
	v_add_f64 v[17:18], v[17:18], s[0:1]
	s_mov_b32 s0, 0xfefa39ef
	s_mov_b32 s1, 0xbfe62e42
	v_fma_f64 v[23:24], v[21:22], s[0:1], |v[15:16]|
	s_mov_b32 s0, 0x9ad53528
	s_mov_b32 s1, 0xbe30790b
	v_cvt_i32_f64_e32 v3, v[21:22]
	v_fma_f64 v[19:20], v[11:12], v[17:18], -v[19:20]
	v_add_f64 v[19:20], v[19:20], s[0:1]
	s_mov_b32 s0, 0x3b39803f
	s_mov_b32 s1, 0xbc7abc9e
	v_fma_f64 v[23:24], v[21:22], s[0:1], v[23:24]
	s_mov_b32 s0, 0x6a5dcb37
	s_mov_b32 s1, 0x3e5ade15
	v_fma_f64 v[17:18], v[11:12], v[19:20], -v[17:18]
	v_fma_f64 v[25:26], v[23:24], s[0:1], v[25:26]
	s_mov_b32 s0, 0x94bb46c1
	s_mov_b32 s1, 0xbe5c4153
	v_add_f64 v[17:18], v[17:18], s[0:1]
	s_mov_b32 s0, 0x623fde64
	s_mov_b32 s1, 0x3ec71dee
	v_fma_f64 v[25:26], v[23:24], v[25:26], s[0:1]
	s_mov_b32 s0, 0x7c89e6b0
	s_mov_b32 s1, 0x3efa0199
	v_fma_f64 v[19:20], v[11:12], v[17:18], -v[19:20]
	v_fma_f64 v[25:26], v[23:24], v[25:26], s[0:1]
	s_mov_b32 s0, 0x2e9e5443
	s_mov_b32 s1, 0xbe90dbfd
	;; [unrolled: 10-line block ×5, first 2 shown]
	v_add_f64 v[17:18], v[17:18], s[0:1]
	s_mov_b32 s0, 0xb55b1514
	s_mov_b32 s1, 0x3fe8ea18
	v_fma_f64 v[25:26], v[23:24], v[25:26], 1.0
	v_fma_f64 v[11:12], v[11:12], v[17:18], -v[19:20]
	v_fma_f64 v[17:18], v[23:24], v[25:26], 1.0
	v_add_f64 v[11:12], v[11:12], s[0:1]
	s_mov_b32 s0, 0
	s_mov_b32 s1, 0x40900000
	v_ldexp_f64 v[17:18], v[17:18], v3
	v_cmp_ngt_f64_e64 s[0:1], |v[15:16]|, s[0:1]
	v_mov_b32_e32 v3, 0x7ff00000
	v_add_f64 v[19:20], v[11:12], -v[19:20]
                                        ; implicit-def: $vgpr12_vgpr13
	v_cndmask_b32_e64 v18, v3, v18, s[0:1]
	v_cndmask_b32_e64 v17, 0, v17, s[0:1]
	s_and_saveexec_b64 s[0:1], vcc
	s_xor_b64 s[0:1], exec, s[0:1]
	s_cbranch_execz .LBB9_1748
; %bb.1747:
	s_mov_b32 s6, 0
	s_brev_b32 s7, 8
	v_cmp_lt_f64_e64 vcc, |v[15:16]|, s[6:7]
	v_mov_b32_e32 v3, 0x100
	v_mul_f64 v[19:20], v[19:20], 0.5
	v_mov_b32_e32 v7, 0x260
	v_cndmask_b32_e32 v3, 0, v3, vcc
	v_ldexp_f64 v[11:12], |v[15:16]|, v3
	v_mov_b32_e32 v3, 0xffffff80
	v_cndmask_b32_e32 v3, 0, v3, vcc
	v_mul_f64 v[17:18], v[17:18], v[19:20]
	v_rsq_f64_e32 v[15:16], v[11:12]
	v_cmp_class_f64_e32 vcc, v[11:12], v7
	v_mul_f64 v[21:22], v[11:12], v[15:16]
	v_mul_f64 v[15:16], v[15:16], 0.5
	v_fma_f64 v[23:24], -v[15:16], v[21:22], 0.5
	v_fma_f64 v[21:22], v[21:22], v[23:24], v[21:22]
	v_fma_f64 v[15:16], v[15:16], v[23:24], v[15:16]
	v_fma_f64 v[23:24], -v[21:22], v[21:22], v[11:12]
	v_fma_f64 v[21:22], v[23:24], v[15:16], v[21:22]
	v_fma_f64 v[23:24], -v[21:22], v[21:22], v[11:12]
	v_fma_f64 v[15:16], v[23:24], v[15:16], v[21:22]
	v_ldexp_f64 v[15:16], v[15:16], v3
	v_cndmask_b32_e32 v12, v16, v12, vcc
	v_cndmask_b32_e32 v11, v15, v11, vcc
	v_div_scale_f64 v[15:16], s[6:7], v[11:12], v[11:12], v[17:18]
	v_div_scale_f64 v[23:24], vcc, v[17:18], v[11:12], v[17:18]
	v_rcp_f64_e32 v[19:20], v[15:16]
	v_fma_f64 v[21:22], -v[15:16], v[19:20], 1.0
	v_fma_f64 v[19:20], v[19:20], v[21:22], v[19:20]
	v_fma_f64 v[21:22], -v[15:16], v[19:20], 1.0
	v_fma_f64 v[19:20], v[19:20], v[21:22], v[19:20]
	v_mul_f64 v[21:22], v[23:24], v[19:20]
	v_fma_f64 v[15:16], -v[15:16], v[21:22], v[23:24]
	v_div_fmas_f64 v[15:16], v[15:16], v[19:20], v[21:22]
                                        ; implicit-def: $vgpr19_vgpr20
	v_div_fixup_f64 v[12:13], v[15:16], v[11:12], v[17:18]
                                        ; implicit-def: $vgpr15_vgpr16
                                        ; implicit-def: $vgpr17_vgpr18
.LBB9_1748:
	s_andn2_saveexec_b64 s[0:1], s[0:1]
	s_cbranch_execz .LBB9_1750
; %bb.1749:
	s_mov_b32 s6, 0
	s_brev_b32 s7, 8
	v_cmp_lt_f64_e64 vcc, |v[15:16]|, s[6:7]
	v_mov_b32_e32 v3, 0x100
	v_mul_f64 v[19:20], v[19:20], -0.5
	v_mov_b32_e32 v7, 0x260
	v_cndmask_b32_e32 v3, 0, v3, vcc
	v_ldexp_f64 v[11:12], |v[15:16]|, v3
	v_mov_b32_e32 v3, 0xffffff80
	v_cndmask_b32_e32 v3, 0, v3, vcc
	v_mul_f64 v[17:18], v[17:18], v[19:20]
	v_rsq_f64_e32 v[15:16], v[11:12]
	v_cmp_class_f64_e32 vcc, v[11:12], v7
	v_mul_f64 v[21:22], v[11:12], v[15:16]
	v_mul_f64 v[15:16], v[15:16], 0.5
	v_fma_f64 v[23:24], -v[15:16], v[21:22], 0.5
	v_fma_f64 v[21:22], v[21:22], v[23:24], v[21:22]
	v_fma_f64 v[15:16], v[15:16], v[23:24], v[15:16]
	v_fma_f64 v[23:24], -v[21:22], v[21:22], v[11:12]
	v_fma_f64 v[21:22], v[23:24], v[15:16], v[21:22]
	v_fma_f64 v[23:24], -v[21:22], v[21:22], v[11:12]
	v_fma_f64 v[15:16], v[23:24], v[15:16], v[21:22]
	v_ldexp_f64 v[15:16], v[15:16], v3
	v_cndmask_b32_e32 v12, v16, v12, vcc
	v_cndmask_b32_e32 v11, v15, v11, vcc
	v_div_scale_f64 v[15:16], s[6:7], v[11:12], v[11:12], v[17:18]
	v_div_scale_f64 v[23:24], vcc, v[17:18], v[11:12], v[17:18]
	v_rcp_f64_e32 v[19:20], v[15:16]
	v_fma_f64 v[21:22], -v[15:16], v[19:20], 1.0
	v_fma_f64 v[19:20], v[19:20], v[21:22], v[19:20]
	v_fma_f64 v[21:22], -v[15:16], v[19:20], 1.0
	v_fma_f64 v[19:20], v[19:20], v[21:22], v[19:20]
	v_mul_f64 v[21:22], v[23:24], v[19:20]
	v_fma_f64 v[15:16], -v[15:16], v[21:22], v[23:24]
	v_div_fmas_f64 v[15:16], v[15:16], v[19:20], v[21:22]
	v_div_fixup_f64 v[12:13], v[15:16], v[11:12], v[17:18]
.LBB9_1750:
	s_or_b64 exec, exec, s[0:1]
.LBB9_1751:
	s_or_b64 exec, exec, s[4:5]
	s_bfe_u32 s14, s16, 0x80008
	v_mov_b32_e32 v3, s9
	v_add_co_u32_e32 v15, vcc, s8, v2
	s_cmp_lt_i32 s14, 11
	v_addc_co_u32_e32 v16, vcc, 0, v3, vcc
	s_cbranch_scc1 .LBB9_1875
; %bb.1752:
	s_and_b32 s15, 0xffff, s14
	s_mov_b64 s[10:11], -1
	s_mov_b64 s[4:5], 0
	s_cmp_gt_i32 s15, 25
	s_mov_b64 s[6:7], 0
	s_mov_b64 s[0:1], 0
	s_cbranch_scc0 .LBB9_1785
; %bb.1753:
	s_cmp_gt_i32 s15, 28
	s_cbranch_scc0 .LBB9_1768
; %bb.1754:
	s_cmp_gt_i32 s15, 43
	;; [unrolled: 3-line block ×3, first 2 shown]
	s_cbranch_scc0 .LBB9_1758
; %bb.1756:
	s_mov_b64 s[0:1], -1
	s_mov_b64 s[10:11], 0
	s_cmp_eq_u32 s15, 46
	s_cbranch_scc0 .LBB9_1758
; %bb.1757:
	v_cvt_f32_f64_e32 v2, v[0:1]
	s_movk_i32 s0, 0x7fff
	v_mov_b32_e32 v3, 0x7fc0
	s_mov_b64 s[6:7], -1
	v_bfe_u32 v7, v2, 16, 1
	v_cmp_o_f32_e32 vcc, v2, v2
	v_add3_u32 v2, v2, v7, s0
	v_cndmask_b32_sdwa v2, v3, v2, vcc dst_sel:DWORD dst_unused:UNUSED_PAD src0_sel:DWORD src1_sel:WORD_1
	global_store_dword v[15:16], v2, off
	s_mov_b64 s[0:1], 0
.LBB9_1758:
	s_and_b64 vcc, exec, s[10:11]
	s_cbranch_vccz .LBB9_1763
; %bb.1759:
	s_cmp_eq_u32 s15, 44
	s_mov_b64 s[0:1], -1
	s_cbranch_scc0 .LBB9_1763
; %bb.1760:
	v_cvt_f32_f64_e32 v2, v[0:1]
	s_movk_i32 s0, 0xff
	v_mov_b32_e32 v7, 0xff
	v_bfe_u32 v3, v2, 23, 8
	v_cmp_ne_u32_e32 vcc, s0, v3
	s_and_saveexec_b64 s[6:7], vcc
; %bb.1761:
	s_mov_b32 s0, 0x3fffff
	v_lshrrev_b32_e32 v7, 23, v2
	v_and_b32_e32 v11, 0x400000, v2
	v_and_or_b32 v2, v2, s0, v3
	v_cmp_ne_u32_e32 vcc, 0, v11
	v_cmp_ne_u32_e64 s[0:1], 0, v2
	s_and_b64 s[0:1], vcc, s[0:1]
	v_cndmask_b32_e64 v2, 0, 1, s[0:1]
	v_add_u32_e32 v7, v7, v2
; %bb.1762:
	s_or_b64 exec, exec, s[6:7]
	s_mov_b64 s[0:1], 0
	s_mov_b64 s[6:7], -1
	global_store_byte v[15:16], v7, off
.LBB9_1763:
	s_mov_b64 s[10:11], 0
.LBB9_1764:
	s_and_b64 vcc, exec, s[10:11]
	s_cbranch_vccz .LBB9_1767
; %bb.1765:
	s_cmp_eq_u32 s15, 29
	s_mov_b64 s[0:1], -1
	s_cbranch_scc0 .LBB9_1767
; %bb.1766:
	v_trunc_f64_e32 v[2:3], v[0:1]
	s_movk_i32 s0, 0xffe0
	s_mov_b64 s[6:7], -1
	v_ldexp_f64 v[17:18], v[2:3], s0
	s_mov_b32 s0, 0
	s_mov_b32 s1, 0xc1f00000
	v_floor_f64_e32 v[17:18], v[17:18]
	v_fma_f64 v[2:3], v[17:18], s[0:1], v[2:3]
	v_cvt_u32_f64_e32 v18, v[17:18]
	s_mov_b64 s[0:1], 0
	v_cvt_u32_f64_e32 v17, v[2:3]
	global_store_dwordx2 v[15:16], v[17:18], off
.LBB9_1767:
	s_mov_b64 s[10:11], 0
.LBB9_1768:
	s_and_b64 vcc, exec, s[10:11]
	s_cbranch_vccz .LBB9_1784
; %bb.1769:
	s_cmp_lt_i32 s15, 27
	s_mov_b64 s[6:7], -1
	s_cbranch_scc1 .LBB9_1775
; %bb.1770:
	v_cvt_u32_f64_e32 v2, v[0:1]
	s_cmp_gt_i32 s15, 27
	s_cbranch_scc0 .LBB9_1772
; %bb.1771:
	s_mov_b64 s[6:7], 0
	global_store_dword v[15:16], v2, off
.LBB9_1772:
	s_andn2_b64 vcc, exec, s[6:7]
	s_cbranch_vccnz .LBB9_1774
; %bb.1773:
	global_store_short v[15:16], v2, off
.LBB9_1774:
	s_mov_b64 s[6:7], 0
.LBB9_1775:
	s_andn2_b64 vcc, exec, s[6:7]
	s_cbranch_vccnz .LBB9_1783
; %bb.1776:
	v_cvt_f32_f64_e32 v2, v[0:1]
	s_mov_b32 s6, 0x43800000
	v_mov_b32_e32 v7, 0x80
	v_and_b32_e32 v3, 0x7fffffff, v2
	v_cmp_gt_u32_e32 vcc, s6, v3
	s_and_saveexec_b64 s[6:7], vcc
	s_cbranch_execz .LBB9_1782
; %bb.1777:
	s_mov_b32 s10, 0x3bffffff
	v_cmp_lt_u32_e32 vcc, s10, v3
	s_mov_b64 s[10:11], 0
                                        ; implicit-def: $vgpr3
	s_and_saveexec_b64 s[12:13], vcc
	s_xor_b64 s[12:13], exec, s[12:13]
	s_cbranch_execz .LBB9_2233
; %bb.1778:
	v_bfe_u32 v3, v2, 20, 1
	s_mov_b32 s17, 0x487ffff
	v_add3_u32 v3, v2, v3, s17
	s_mov_b64 s[10:11], exec
	v_lshrrev_b32_e32 v3, 20, v3
	s_andn2_saveexec_b64 s[12:13], s[12:13]
	s_cbranch_execnz .LBB9_2234
.LBB9_1779:
	s_or_b64 exec, exec, s[12:13]
	v_mov_b32_e32 v7, 0
	s_and_saveexec_b64 s[12:13], s[10:11]
.LBB9_1780:
	v_lshrrev_b32_e32 v2, 24, v2
	s_movk_i32 s10, 0x80
	v_and_or_b32 v7, v2, s10, v3
.LBB9_1781:
	s_or_b64 exec, exec, s[12:13]
.LBB9_1782:
	s_or_b64 exec, exec, s[6:7]
	global_store_byte v[15:16], v7, off
.LBB9_1783:
	s_mov_b64 s[6:7], -1
.LBB9_1784:
	s_mov_b64 s[10:11], 0
.LBB9_1785:
	s_and_b64 vcc, exec, s[10:11]
	s_cbranch_vccz .LBB9_1825
; %bb.1786:
	s_cmp_gt_i32 s15, 22
	s_mov_b64 s[4:5], -1
	s_cbranch_scc0 .LBB9_1818
; %bb.1787:
	s_cmp_lt_i32 s15, 24
	s_cbranch_scc1 .LBB9_1807
; %bb.1788:
	s_cmp_gt_i32 s15, 24
	s_cbranch_scc0 .LBB9_1796
; %bb.1789:
	v_cvt_f32_f64_e32 v2, v[0:1]
	s_mov_b32 s4, 0x47800000
	v_mov_b32_e32 v7, 0x80
	v_and_b32_e32 v3, 0x7fffffff, v2
	v_cmp_gt_u32_e32 vcc, s4, v3
	s_and_saveexec_b64 s[4:5], vcc
	s_cbranch_execz .LBB9_1795
; %bb.1790:
	s_mov_b32 s6, 0x37ffffff
	v_cmp_lt_u32_e32 vcc, s6, v3
	s_mov_b64 s[6:7], 0
                                        ; implicit-def: $vgpr3
	s_and_saveexec_b64 s[10:11], vcc
	s_xor_b64 s[10:11], exec, s[10:11]
	s_cbranch_execz .LBB9_2236
; %bb.1791:
	v_bfe_u32 v3, v2, 21, 1
	s_mov_b32 s12, 0x88fffff
	v_add3_u32 v3, v2, v3, s12
	s_mov_b64 s[6:7], exec
	v_lshrrev_b32_e32 v3, 21, v3
	s_andn2_saveexec_b64 s[10:11], s[10:11]
	s_cbranch_execnz .LBB9_2237
.LBB9_1792:
	s_or_b64 exec, exec, s[10:11]
	v_mov_b32_e32 v7, 0
	s_and_saveexec_b64 s[10:11], s[6:7]
.LBB9_1793:
	v_lshrrev_b32_e32 v2, 24, v2
	s_movk_i32 s6, 0x80
	v_and_or_b32 v7, v2, s6, v3
.LBB9_1794:
	s_or_b64 exec, exec, s[10:11]
.LBB9_1795:
	s_or_b64 exec, exec, s[4:5]
	s_mov_b64 s[4:5], 0
	global_store_byte v[15:16], v7, off
.LBB9_1796:
	s_and_b64 vcc, exec, s[4:5]
	s_cbranch_vccz .LBB9_1806
; %bb.1797:
	v_cvt_f32_f64_e32 v2, v[0:1]
	s_mov_b32 s4, 0x43f00000
                                        ; implicit-def: $vgpr3
	v_and_b32_e32 v7, 0x7fffffff, v2
	v_cmp_gt_u32_e32 vcc, s4, v7
	s_and_saveexec_b64 s[4:5], vcc
	s_xor_b64 s[4:5], exec, s[4:5]
	s_cbranch_execz .LBB9_1803
; %bb.1798:
	s_mov_b32 s6, 0x3c7fffff
	v_cmp_lt_u32_e32 vcc, s6, v7
                                        ; implicit-def: $vgpr3
	s_and_saveexec_b64 s[6:7], vcc
	s_xor_b64 s[6:7], exec, s[6:7]
; %bb.1799:
	v_bfe_u32 v3, v2, 20, 1
	s_mov_b32 s10, 0x407ffff
	v_add3_u32 v3, v2, v3, s10
	v_lshrrev_b32_e32 v7, 20, v3
	v_and_b32_e32 v3, 0xff00000, v3
	s_mov_b32 s10, 0x7f00000
	v_mov_b32_e32 v11, 0x7e
	v_cmp_ne_u32_e32 vcc, s10, v3
	v_cndmask_b32_e32 v3, v11, v7, vcc
; %bb.1800:
	s_andn2_saveexec_b64 s[6:7], s[6:7]
; %bb.1801:
	s_mov_b32 s10, 0x46800000
	v_add_f32_e64 v3, |v2|, s10
; %bb.1802:
	s_or_b64 exec, exec, s[6:7]
                                        ; implicit-def: $vgpr7
.LBB9_1803:
	s_andn2_saveexec_b64 s[4:5], s[4:5]
; %bb.1804:
	s_mov_b32 s6, 0x7f800000
	v_mov_b32_e32 v3, 0x7e
	v_mov_b32_e32 v11, 0x7f
	v_cmp_lt_u32_e32 vcc, s6, v7
	v_cndmask_b32_e32 v3, v3, v11, vcc
; %bb.1805:
	s_or_b64 exec, exec, s[4:5]
	v_lshrrev_b32_e32 v2, 24, v2
	s_movk_i32 s4, 0x80
	v_and_or_b32 v2, v2, s4, v3
	global_store_byte v[15:16], v2, off
.LBB9_1806:
	s_mov_b64 s[4:5], 0
.LBB9_1807:
	s_andn2_b64 vcc, exec, s[4:5]
	s_cbranch_vccnz .LBB9_1817
; %bb.1808:
	v_cvt_f32_f64_e32 v2, v[0:1]
	s_mov_b32 s4, 0x47800000
                                        ; implicit-def: $vgpr3
	v_and_b32_e32 v7, 0x7fffffff, v2
	v_cmp_gt_u32_e32 vcc, s4, v7
	s_and_saveexec_b64 s[4:5], vcc
	s_xor_b64 s[4:5], exec, s[4:5]
	s_cbranch_execz .LBB9_1814
; %bb.1809:
	s_mov_b32 s6, 0x387fffff
	v_cmp_lt_u32_e32 vcc, s6, v7
                                        ; implicit-def: $vgpr3
	s_and_saveexec_b64 s[6:7], vcc
	s_xor_b64 s[6:7], exec, s[6:7]
; %bb.1810:
	v_bfe_u32 v3, v2, 21, 1
	s_mov_b32 s10, 0x80fffff
	v_add3_u32 v3, v2, v3, s10
	v_lshrrev_b32_e32 v3, 21, v3
; %bb.1811:
	s_andn2_saveexec_b64 s[6:7], s[6:7]
; %bb.1812:
	s_mov_b32 s10, 0x43000000
	v_add_f32_e64 v3, |v2|, s10
; %bb.1813:
	s_or_b64 exec, exec, s[6:7]
                                        ; implicit-def: $vgpr7
.LBB9_1814:
	s_andn2_saveexec_b64 s[4:5], s[4:5]
; %bb.1815:
	s_mov_b32 s6, 0x7f800000
	v_mov_b32_e32 v3, 0x7c
	v_mov_b32_e32 v11, 0x7f
	v_cmp_lt_u32_e32 vcc, s6, v7
	v_cndmask_b32_e32 v3, v3, v11, vcc
; %bb.1816:
	s_or_b64 exec, exec, s[4:5]
	v_lshrrev_b32_e32 v2, 24, v2
	s_movk_i32 s4, 0x80
	v_and_or_b32 v2, v2, s4, v3
	global_store_byte v[15:16], v2, off
.LBB9_1817:
	s_mov_b64 s[4:5], 0
	s_mov_b64 s[6:7], -1
.LBB9_1818:
	s_andn2_b64 vcc, exec, s[4:5]
	s_mov_b64 s[4:5], 0
	s_cbranch_vccnz .LBB9_1825
; %bb.1819:
	s_cmp_gt_i32 s15, 14
	s_mov_b64 s[10:11], -1
	s_cbranch_scc0 .LBB9_1823
; %bb.1820:
	s_cmp_eq_u32 s15, 15
	s_mov_b64 s[0:1], -1
	s_cbranch_scc0 .LBB9_1822
; %bb.1821:
	v_cvt_f32_f64_e32 v2, v[0:1]
	s_movk_i32 s0, 0x7fff
	v_mov_b32_e32 v3, 0x7fc0
	s_mov_b64 s[6:7], -1
	v_bfe_u32 v7, v2, 16, 1
	v_cmp_o_f32_e32 vcc, v2, v2
	v_add3_u32 v2, v2, v7, s0
	v_cndmask_b32_sdwa v2, v3, v2, vcc dst_sel:DWORD dst_unused:UNUSED_PAD src0_sel:DWORD src1_sel:WORD_1
	global_store_short v[15:16], v2, off
	s_mov_b64 s[0:1], 0
.LBB9_1822:
	s_mov_b64 s[10:11], 0
.LBB9_1823:
	s_and_b64 vcc, exec, s[10:11]
	s_cbranch_vccz .LBB9_1825
; %bb.1824:
	s_cmp_lg_u32 s15, 11
	s_mov_b64 s[4:5], -1
	s_cselect_b64 s[0:1], -1, 0
.LBB9_1825:
	s_and_b64 vcc, exec, s[0:1]
	s_cbranch_vccnz .LBB9_2235
; %bb.1826:
	s_andn2_b64 vcc, exec, s[4:5]
	s_cbranch_vccnz .LBB9_1828
.LBB9_1827:
	v_cmp_neq_f64_e32 vcc, 0, v[0:1]
	s_mov_b64 s[6:7], -1
	v_cndmask_b32_e64 v2, 0, 1, vcc
	global_store_byte v[15:16], v2, off
.LBB9_1828:
	s_mov_b64 s[0:1], 0
	s_branch .LBB9_1876
.LBB9_1829:
	s_mov_b64 s[0:1], 0
                                        ; implicit-def: $vgpr0_vgpr1
                                        ; implicit-def: $sgpr14
                                        ; implicit-def: $vgpr12_vgpr13
.LBB9_1830:
	s_mov_b64 s[4:5], 0
.LBB9_1831:
	s_and_b64 s[6:7], s[4:5], exec
	s_andn2_b64 s[4:5], s[28:29], exec
	s_and_b64 s[2:3], s[2:3], exec
	s_and_b64 s[0:1], s[0:1], exec
	s_or_b64 s[28:29], s[4:5], s[2:3]
.LBB9_1832:
	s_or_b64 exec, exec, s[30:31]
	s_and_saveexec_b64 s[2:3], s[28:29]
	s_cbranch_execz .LBB9_1835
; %bb.1833:
	; divergent unreachable
	s_or_b64 exec, exec, s[2:3]
	s_and_saveexec_b64 s[2:3], s[6:7]
	s_xor_b64 s[2:3], exec, s[2:3]
	s_cbranch_execnz .LBB9_1836
.LBB9_1834:
	s_or_b64 exec, exec, s[2:3]
	s_and_saveexec_b64 s[2:3], s[0:1]
	s_cbranch_execnz .LBB9_1837
	s_branch .LBB9_1874
.LBB9_1835:
	s_or_b64 exec, exec, s[2:3]
	s_and_saveexec_b64 s[2:3], s[6:7]
	s_xor_b64 s[2:3], exec, s[2:3]
	s_cbranch_execz .LBB9_1834
.LBB9_1836:
	s_waitcnt vmcnt(0)
	v_cmp_neq_f64_e32 vcc, 0, v[12:13]
	v_cndmask_b32_e64 v2, 0, 1, vcc
	global_store_byte v[0:1], v2, off
	s_or_b64 exec, exec, s[2:3]
	s_and_saveexec_b64 s[2:3], s[0:1]
	s_cbranch_execz .LBB9_1874
.LBB9_1837:
	s_sext_i32_i16 s2, s14
	s_cmp_lt_i32 s2, 5
	s_mov_b64 s[0:1], -1
	s_cbranch_scc1 .LBB9_1858
; %bb.1838:
	s_cmp_lt_i32 s2, 8
	s_cbranch_scc1 .LBB9_1848
; %bb.1839:
	s_cmp_lt_i32 s2, 9
	s_cbranch_scc1 .LBB9_1845
; %bb.1840:
	s_cmp_gt_i32 s2, 9
	s_cbranch_scc0 .LBB9_1842
; %bb.1841:
	v_mov_b32_e32 v14, 0
	s_waitcnt vmcnt(0)
	v_mov_b32_e32 v15, v14
	global_store_dwordx4 v[0:1], v[12:15], off
	s_mov_b64 s[0:1], 0
.LBB9_1842:
	s_andn2_b64 vcc, exec, s[0:1]
	s_cbranch_vccnz .LBB9_1844
; %bb.1843:
	s_waitcnt vmcnt(0)
	v_cvt_f32_f64_e32 v2, v[12:13]
	v_mov_b32_e32 v3, 0
	global_store_dwordx2 v[0:1], v[2:3], off
.LBB9_1844:
	s_mov_b64 s[0:1], 0
.LBB9_1845:
	s_andn2_b64 vcc, exec, s[0:1]
	s_cbranch_vccnz .LBB9_1847
; %bb.1846:
	s_movk_i32 s0, 0x1ff
	s_waitcnt vmcnt(0)
	v_and_or_b32 v2, v13, s0, v12
	v_cmp_ne_u32_e32 vcc, 0, v2
	v_cndmask_b32_e64 v2, 0, 1, vcc
	v_lshrrev_b32_e32 v3, 8, v13
	s_movk_i32 s0, 0xffe
	v_bfe_u32 v4, v13, 20, 11
	v_and_or_b32 v2, v3, s0, v2
	v_sub_u32_e32 v5, 0x3f1, v4
	v_or_b32_e32 v3, 0x1000, v2
	v_med3_i32 v5, v5, 0, 13
	v_lshrrev_b32_e32 v6, v5, v3
	v_lshlrev_b32_e32 v5, v5, v6
	v_cmp_ne_u32_e32 vcc, v5, v3
	v_cndmask_b32_e64 v3, 0, 1, vcc
	v_add_u32_e32 v4, 0xfffffc10, v4
	v_or_b32_e32 v3, v6, v3
	v_lshl_or_b32 v5, v4, 12, v2
	v_cmp_gt_i32_e32 vcc, 1, v4
	v_cndmask_b32_e32 v3, v5, v3, vcc
	v_and_b32_e32 v5, 7, v3
	v_cmp_lt_i32_e32 vcc, 5, v5
	v_cndmask_b32_e64 v6, 0, 1, vcc
	v_cmp_eq_u32_e32 vcc, 3, v5
	v_cndmask_b32_e64 v5, 0, 1, vcc
	v_or_b32_e32 v5, v5, v6
	v_lshrrev_b32_e32 v3, 2, v3
	v_add_u32_e32 v3, v3, v5
	v_mov_b32_e32 v5, 0x7c00
	v_cmp_gt_i32_e32 vcc, 31, v4
	v_cndmask_b32_e32 v3, v5, v3, vcc
	v_mov_b32_e32 v6, 0x7e00
	v_cmp_ne_u32_e32 vcc, 0, v2
	s_movk_i32 s0, 0x40f
	v_cndmask_b32_e32 v2, v5, v6, vcc
	v_cmp_eq_u32_e32 vcc, s0, v4
	v_cndmask_b32_e32 v2, v3, v2, vcc
	v_lshrrev_b32_e32 v3, 16, v13
	s_mov_b32 s0, 0x8000
	v_and_or_b32 v2, v3, s0, v2
	v_and_b32_e32 v2, 0xffff, v2
	global_store_dword v[0:1], v2, off
.LBB9_1847:
	s_mov_b64 s[0:1], 0
.LBB9_1848:
	s_andn2_b64 vcc, exec, s[0:1]
	s_cbranch_vccnz .LBB9_1857
; %bb.1849:
	s_sext_i32_i16 s2, s14
	s_cmp_lt_i32 s2, 6
	s_mov_b64 s[0:1], -1
	s_cbranch_scc1 .LBB9_1855
; %bb.1850:
	s_cmp_gt_i32 s2, 6
	s_cbranch_scc0 .LBB9_1852
; %bb.1851:
	s_waitcnt vmcnt(0)
	global_store_dwordx2 v[0:1], v[12:13], off
	s_mov_b64 s[0:1], 0
.LBB9_1852:
	s_andn2_b64 vcc, exec, s[0:1]
	s_cbranch_vccnz .LBB9_1854
; %bb.1853:
	s_waitcnt vmcnt(0)
	v_cvt_f32_f64_e32 v2, v[12:13]
	global_store_dword v[0:1], v2, off
.LBB9_1854:
	s_mov_b64 s[0:1], 0
.LBB9_1855:
	s_andn2_b64 vcc, exec, s[0:1]
	s_cbranch_vccnz .LBB9_1857
; %bb.1856:
	s_movk_i32 s0, 0x1ff
	s_waitcnt vmcnt(0)
	v_and_or_b32 v2, v13, s0, v12
	v_cmp_ne_u32_e32 vcc, 0, v2
	v_cndmask_b32_e64 v2, 0, 1, vcc
	v_lshrrev_b32_e32 v3, 8, v13
	s_movk_i32 s0, 0xffe
	v_bfe_u32 v4, v13, 20, 11
	v_and_or_b32 v2, v3, s0, v2
	v_sub_u32_e32 v5, 0x3f1, v4
	v_or_b32_e32 v3, 0x1000, v2
	v_med3_i32 v5, v5, 0, 13
	v_lshrrev_b32_e32 v6, v5, v3
	v_lshlrev_b32_e32 v5, v5, v6
	v_cmp_ne_u32_e32 vcc, v5, v3
	v_cndmask_b32_e64 v3, 0, 1, vcc
	v_add_u32_e32 v4, 0xfffffc10, v4
	v_or_b32_e32 v3, v6, v3
	v_lshl_or_b32 v5, v4, 12, v2
	v_cmp_gt_i32_e32 vcc, 1, v4
	v_cndmask_b32_e32 v3, v5, v3, vcc
	v_and_b32_e32 v5, 7, v3
	v_cmp_lt_i32_e32 vcc, 5, v5
	v_cndmask_b32_e64 v6, 0, 1, vcc
	v_cmp_eq_u32_e32 vcc, 3, v5
	v_cndmask_b32_e64 v5, 0, 1, vcc
	v_or_b32_e32 v5, v5, v6
	v_lshrrev_b32_e32 v3, 2, v3
	v_add_u32_e32 v3, v3, v5
	v_mov_b32_e32 v5, 0x7c00
	v_cmp_gt_i32_e32 vcc, 31, v4
	v_cndmask_b32_e32 v3, v5, v3, vcc
	v_mov_b32_e32 v6, 0x7e00
	v_cmp_ne_u32_e32 vcc, 0, v2
	s_movk_i32 s0, 0x40f
	v_cndmask_b32_e32 v2, v5, v6, vcc
	v_cmp_eq_u32_e32 vcc, s0, v4
	v_cndmask_b32_e32 v2, v3, v2, vcc
	v_lshrrev_b32_e32 v3, 16, v13
	s_mov_b32 s0, 0x8000
	v_and_or_b32 v2, v3, s0, v2
	global_store_short v[0:1], v2, off
.LBB9_1857:
	s_mov_b64 s[0:1], 0
.LBB9_1858:
	s_andn2_b64 vcc, exec, s[0:1]
	s_cbranch_vccnz .LBB9_1874
; %bb.1859:
	s_sext_i32_i16 s2, s14
	s_cmp_lt_i32 s2, 2
	s_mov_b64 s[0:1], -1
	s_cbranch_scc1 .LBB9_1869
; %bb.1860:
	s_cmp_lt_i32 s2, 3
	s_cbranch_scc1 .LBB9_1866
; %bb.1861:
	s_cmp_gt_i32 s2, 3
	s_cbranch_scc0 .LBB9_1863
; %bb.1862:
	s_waitcnt vmcnt(0)
	v_trunc_f64_e32 v[2:3], v[12:13]
	s_movk_i32 s0, 0xffe0
	v_ldexp_f64 v[4:5], v[2:3], s0
	s_mov_b32 s0, 0
	s_mov_b32 s1, 0xc1f00000
	v_floor_f64_e32 v[4:5], v[4:5]
	v_fma_f64 v[2:3], v[4:5], s[0:1], v[2:3]
	v_cvt_i32_f64_e32 v4, v[4:5]
	s_mov_b64 s[0:1], 0
	v_cvt_u32_f64_e32 v3, v[2:3]
	global_store_dwordx2 v[0:1], v[3:4], off
.LBB9_1863:
	s_andn2_b64 vcc, exec, s[0:1]
	s_cbranch_vccnz .LBB9_1865
; %bb.1864:
	s_waitcnt vmcnt(0)
	v_cvt_i32_f64_e32 v2, v[12:13]
	global_store_dword v[0:1], v2, off
.LBB9_1865:
	s_mov_b64 s[0:1], 0
.LBB9_1866:
	s_andn2_b64 vcc, exec, s[0:1]
	s_cbranch_vccnz .LBB9_1868
; %bb.1867:
	s_waitcnt vmcnt(0)
	v_cvt_i32_f64_e32 v2, v[12:13]
	global_store_short v[0:1], v2, off
.LBB9_1868:
	s_mov_b64 s[0:1], 0
.LBB9_1869:
	s_andn2_b64 vcc, exec, s[0:1]
	s_cbranch_vccnz .LBB9_1874
; %bb.1870:
	s_sext_i32_i16 s0, s14
	s_cmp_gt_i32 s0, 0
	s_mov_b64 s[0:1], -1
	s_cbranch_scc0 .LBB9_1872
; %bb.1871:
	s_waitcnt vmcnt(0)
	v_cvt_i32_f64_e32 v2, v[12:13]
	s_mov_b64 s[0:1], 0
	global_store_byte v[0:1], v2, off
.LBB9_1872:
	s_andn2_b64 vcc, exec, s[0:1]
	s_cbranch_vccnz .LBB9_1874
; %bb.1873:
	s_waitcnt vmcnt(0)
	v_trunc_f64_e32 v[2:3], v[12:13]
	s_movk_i32 s0, 0xffe0
	v_ldexp_f64 v[4:5], v[2:3], s0
	s_mov_b32 s0, 0
	s_mov_b32 s1, 0xc1f00000
	v_floor_f64_e32 v[4:5], v[4:5]
	v_fma_f64 v[2:3], v[4:5], s[0:1], v[2:3]
	v_cvt_u32_f64_e32 v2, v[2:3]
	global_store_byte v[0:1], v2, off
	s_endpgm
.LBB9_1874:
	s_endpgm
.LBB9_1875:
	s_mov_b64 s[0:1], -1
	s_mov_b64 s[6:7], 0
.LBB9_1876:
	s_and_b64 vcc, exec, s[0:1]
	s_cbranch_vccz .LBB9_1915
; %bb.1877:
	s_and_b32 s4, 0xffff, s14
	s_cmp_lt_i32 s4, 5
	s_mov_b64 s[0:1], -1
	s_cbranch_scc1 .LBB9_1898
; %bb.1878:
	s_cmp_lt_i32 s4, 8
	s_cbranch_scc1 .LBB9_1888
; %bb.1879:
	s_cmp_lt_i32 s4, 9
	s_cbranch_scc1 .LBB9_1885
; %bb.1880:
	s_cmp_gt_i32 s4, 9
	s_cbranch_scc0 .LBB9_1882
; %bb.1881:
	v_mov_b32_e32 v2, 0
	v_mov_b32_e32 v3, v2
	global_store_dwordx4 v[15:16], v[0:3], off
	s_mov_b64 s[0:1], 0
.LBB9_1882:
	s_andn2_b64 vcc, exec, s[0:1]
	s_cbranch_vccnz .LBB9_1884
; %bb.1883:
	v_cvt_f32_f64_e32 v2, v[0:1]
	v_mov_b32_e32 v3, 0
	global_store_dwordx2 v[15:16], v[2:3], off
.LBB9_1884:
	s_mov_b64 s[0:1], 0
.LBB9_1885:
	s_andn2_b64 vcc, exec, s[0:1]
	s_cbranch_vccnz .LBB9_1887
; %bb.1886:
	s_movk_i32 s0, 0x1ff
	v_and_or_b32 v2, v1, s0, v0
	v_cmp_ne_u32_e32 vcc, 0, v2
	v_cndmask_b32_e64 v2, 0, 1, vcc
	v_lshrrev_b32_e32 v3, 8, v1
	s_movk_i32 s0, 0xffe
	v_bfe_u32 v7, v1, 20, 11
	v_and_or_b32 v2, v3, s0, v2
	v_sub_u32_e32 v11, 0x3f1, v7
	v_or_b32_e32 v3, 0x1000, v2
	v_med3_i32 v11, v11, 0, 13
	v_lshrrev_b32_e32 v17, v11, v3
	v_lshlrev_b32_e32 v11, v11, v17
	v_cmp_ne_u32_e32 vcc, v11, v3
	v_cndmask_b32_e64 v3, 0, 1, vcc
	v_add_u32_e32 v7, 0xfffffc10, v7
	v_or_b32_e32 v3, v17, v3
	v_lshl_or_b32 v11, v7, 12, v2
	v_cmp_gt_i32_e32 vcc, 1, v7
	v_cndmask_b32_e32 v3, v11, v3, vcc
	v_and_b32_e32 v11, 7, v3
	v_cmp_lt_i32_e32 vcc, 5, v11
	v_cndmask_b32_e64 v17, 0, 1, vcc
	v_cmp_eq_u32_e32 vcc, 3, v11
	v_cndmask_b32_e64 v11, 0, 1, vcc
	v_or_b32_e32 v11, v11, v17
	v_lshrrev_b32_e32 v3, 2, v3
	v_add_u32_e32 v3, v3, v11
	v_mov_b32_e32 v11, 0x7c00
	v_cmp_gt_i32_e32 vcc, 31, v7
	v_cndmask_b32_e32 v3, v11, v3, vcc
	v_mov_b32_e32 v17, 0x7e00
	v_cmp_ne_u32_e32 vcc, 0, v2
	s_movk_i32 s0, 0x40f
	v_cndmask_b32_e32 v2, v11, v17, vcc
	v_cmp_eq_u32_e32 vcc, s0, v7
	v_cndmask_b32_e32 v2, v3, v2, vcc
	v_lshrrev_b32_e32 v3, 16, v1
	s_mov_b32 s0, 0x8000
	v_and_or_b32 v2, v3, s0, v2
	v_and_b32_e32 v2, 0xffff, v2
	global_store_dword v[15:16], v2, off
.LBB9_1887:
	s_mov_b64 s[0:1], 0
.LBB9_1888:
	s_andn2_b64 vcc, exec, s[0:1]
	s_cbranch_vccnz .LBB9_1897
; %bb.1889:
	s_cmp_lt_i32 s4, 6
	s_mov_b64 s[0:1], -1
	s_cbranch_scc1 .LBB9_1895
; %bb.1890:
	s_cmp_gt_i32 s4, 6
	s_cbranch_scc0 .LBB9_1892
; %bb.1891:
	global_store_dwordx2 v[15:16], v[0:1], off
	s_mov_b64 s[0:1], 0
.LBB9_1892:
	s_andn2_b64 vcc, exec, s[0:1]
	s_cbranch_vccnz .LBB9_1894
; %bb.1893:
	v_cvt_f32_f64_e32 v2, v[0:1]
	global_store_dword v[15:16], v2, off
.LBB9_1894:
	s_mov_b64 s[0:1], 0
.LBB9_1895:
	s_andn2_b64 vcc, exec, s[0:1]
	s_cbranch_vccnz .LBB9_1897
; %bb.1896:
	s_movk_i32 s0, 0x1ff
	v_and_or_b32 v2, v1, s0, v0
	v_cmp_ne_u32_e32 vcc, 0, v2
	v_cndmask_b32_e64 v2, 0, 1, vcc
	v_lshrrev_b32_e32 v3, 8, v1
	s_movk_i32 s0, 0xffe
	v_bfe_u32 v7, v1, 20, 11
	v_and_or_b32 v2, v3, s0, v2
	v_sub_u32_e32 v11, 0x3f1, v7
	v_or_b32_e32 v3, 0x1000, v2
	v_med3_i32 v11, v11, 0, 13
	v_lshrrev_b32_e32 v17, v11, v3
	v_lshlrev_b32_e32 v11, v11, v17
	v_cmp_ne_u32_e32 vcc, v11, v3
	v_cndmask_b32_e64 v3, 0, 1, vcc
	v_add_u32_e32 v7, 0xfffffc10, v7
	v_or_b32_e32 v3, v17, v3
	v_lshl_or_b32 v11, v7, 12, v2
	v_cmp_gt_i32_e32 vcc, 1, v7
	v_cndmask_b32_e32 v3, v11, v3, vcc
	v_and_b32_e32 v11, 7, v3
	v_cmp_lt_i32_e32 vcc, 5, v11
	v_cndmask_b32_e64 v17, 0, 1, vcc
	v_cmp_eq_u32_e32 vcc, 3, v11
	v_cndmask_b32_e64 v11, 0, 1, vcc
	v_or_b32_e32 v11, v11, v17
	v_lshrrev_b32_e32 v3, 2, v3
	v_add_u32_e32 v3, v3, v11
	v_mov_b32_e32 v11, 0x7c00
	v_cmp_gt_i32_e32 vcc, 31, v7
	v_cndmask_b32_e32 v3, v11, v3, vcc
	v_mov_b32_e32 v17, 0x7e00
	v_cmp_ne_u32_e32 vcc, 0, v2
	s_movk_i32 s0, 0x40f
	v_cndmask_b32_e32 v2, v11, v17, vcc
	v_cmp_eq_u32_e32 vcc, s0, v7
	v_cndmask_b32_e32 v2, v3, v2, vcc
	v_lshrrev_b32_e32 v3, 16, v1
	s_mov_b32 s0, 0x8000
	v_and_or_b32 v2, v3, s0, v2
	global_store_short v[15:16], v2, off
.LBB9_1897:
	s_mov_b64 s[0:1], 0
.LBB9_1898:
	s_andn2_b64 vcc, exec, s[0:1]
	s_cbranch_vccnz .LBB9_1914
; %bb.1899:
	s_cmp_lt_i32 s4, 2
	s_mov_b64 s[0:1], -1
	s_cbranch_scc1 .LBB9_1909
; %bb.1900:
	s_cmp_lt_i32 s4, 3
	s_cbranch_scc1 .LBB9_1906
; %bb.1901:
	s_cmp_gt_i32 s4, 3
	s_cbranch_scc0 .LBB9_1903
; %bb.1902:
	v_trunc_f64_e32 v[2:3], v[0:1]
	s_movk_i32 s0, 0xffe0
	v_ldexp_f64 v[17:18], v[2:3], s0
	s_mov_b32 s0, 0
	s_mov_b32 s1, 0xc1f00000
	v_floor_f64_e32 v[17:18], v[17:18]
	v_fma_f64 v[2:3], v[17:18], s[0:1], v[2:3]
	v_cvt_i32_f64_e32 v18, v[17:18]
	s_mov_b64 s[0:1], 0
	v_cvt_u32_f64_e32 v17, v[2:3]
	global_store_dwordx2 v[15:16], v[17:18], off
.LBB9_1903:
	s_andn2_b64 vcc, exec, s[0:1]
	s_cbranch_vccnz .LBB9_1905
; %bb.1904:
	v_cvt_i32_f64_e32 v2, v[0:1]
	global_store_dword v[15:16], v2, off
.LBB9_1905:
	s_mov_b64 s[0:1], 0
.LBB9_1906:
	s_andn2_b64 vcc, exec, s[0:1]
	s_cbranch_vccnz .LBB9_1908
; %bb.1907:
	v_cvt_i32_f64_e32 v2, v[0:1]
	global_store_short v[15:16], v2, off
.LBB9_1908:
	s_mov_b64 s[0:1], 0
.LBB9_1909:
	s_andn2_b64 vcc, exec, s[0:1]
	s_cbranch_vccnz .LBB9_1914
; %bb.1910:
	s_cmp_gt_i32 s4, 0
	s_mov_b64 s[0:1], -1
	s_cbranch_scc0 .LBB9_1912
; %bb.1911:
	v_cvt_i32_f64_e32 v2, v[0:1]
	s_mov_b64 s[0:1], 0
	global_store_byte v[15:16], v2, off
.LBB9_1912:
	s_andn2_b64 vcc, exec, s[0:1]
	s_cbranch_vccnz .LBB9_1914
; %bb.1913:
	v_trunc_f64_e32 v[0:1], v[0:1]
	s_movk_i32 s0, 0xffe0
	v_ldexp_f64 v[2:3], v[0:1], s0
	s_mov_b32 s0, 0
	s_mov_b32 s1, 0xc1f00000
	v_floor_f64_e32 v[2:3], v[2:3]
	v_fma_f64 v[0:1], v[2:3], s[0:1], v[0:1]
	v_cvt_u32_f64_e32 v0, v[0:1]
	global_store_byte v[15:16], v0, off
.LBB9_1914:
	s_mov_b64 s[6:7], -1
.LBB9_1915:
	s_andn2_b64 vcc, exec, s[6:7]
	s_cbranch_vccnz .LBB9_2230
; %bb.1916:
	s_lshr_b32 s0, s16, 8
	s_and_b32 s14, s0, 0xff
	v_mov_b32_e32 v1, s9
	v_add_co_u32_e32 v0, vcc, s8, v6
	s_cmp_lt_i32 s14, 11
	v_addc_co_u32_e32 v1, vcc, 0, v1, vcc
	s_cbranch_scc1 .LBB9_1994
; %bb.1917:
	s_and_b32 s15, 0xffff, s14
	s_mov_b64 s[10:11], -1
	s_mov_b64 s[4:5], 0
	s_cmp_gt_i32 s15, 25
	s_mov_b64 s[6:7], 0
	s_mov_b64 s[0:1], 0
	s_cbranch_scc0 .LBB9_1950
; %bb.1918:
	s_cmp_gt_i32 s15, 28
	s_cbranch_scc0 .LBB9_1933
; %bb.1919:
	s_cmp_gt_i32 s15, 43
	;; [unrolled: 3-line block ×3, first 2 shown]
	s_cbranch_scc0 .LBB9_1923
; %bb.1921:
	s_mov_b64 s[0:1], -1
	s_mov_b64 s[10:11], 0
	s_cmp_eq_u32 s15, 46
	s_cbranch_scc0 .LBB9_1923
; %bb.1922:
	v_cvt_f32_f64_e32 v2, v[4:5]
	s_movk_i32 s0, 0x7fff
	v_mov_b32_e32 v3, 0x7fc0
	s_mov_b64 s[6:7], -1
	v_bfe_u32 v6, v2, 16, 1
	v_cmp_o_f32_e32 vcc, v2, v2
	v_add3_u32 v2, v2, v6, s0
	v_cndmask_b32_sdwa v2, v3, v2, vcc dst_sel:DWORD dst_unused:UNUSED_PAD src0_sel:DWORD src1_sel:WORD_1
	global_store_dword v[0:1], v2, off
	s_mov_b64 s[0:1], 0
.LBB9_1923:
	s_and_b64 vcc, exec, s[10:11]
	s_cbranch_vccz .LBB9_1928
; %bb.1924:
	s_cmp_eq_u32 s15, 44
	s_mov_b64 s[0:1], -1
	s_cbranch_scc0 .LBB9_1928
; %bb.1925:
	v_cvt_f32_f64_e32 v2, v[4:5]
	s_movk_i32 s0, 0xff
	v_mov_b32_e32 v6, 0xff
	v_bfe_u32 v3, v2, 23, 8
	v_cmp_ne_u32_e32 vcc, s0, v3
	s_and_saveexec_b64 s[6:7], vcc
; %bb.1926:
	s_mov_b32 s0, 0x3fffff
	v_lshrrev_b32_e32 v6, 23, v2
	v_and_b32_e32 v7, 0x400000, v2
	v_and_or_b32 v2, v2, s0, v3
	v_cmp_ne_u32_e32 vcc, 0, v7
	v_cmp_ne_u32_e64 s[0:1], 0, v2
	s_and_b64 s[0:1], vcc, s[0:1]
	v_cndmask_b32_e64 v2, 0, 1, s[0:1]
	v_add_u32_e32 v6, v6, v2
; %bb.1927:
	s_or_b64 exec, exec, s[6:7]
	s_mov_b64 s[0:1], 0
	s_mov_b64 s[6:7], -1
	global_store_byte v[0:1], v6, off
.LBB9_1928:
	s_mov_b64 s[10:11], 0
.LBB9_1929:
	s_and_b64 vcc, exec, s[10:11]
	s_cbranch_vccz .LBB9_1932
; %bb.1930:
	s_cmp_eq_u32 s15, 29
	s_mov_b64 s[0:1], -1
	s_cbranch_scc0 .LBB9_1932
; %bb.1931:
	v_trunc_f64_e32 v[2:3], v[4:5]
	s_movk_i32 s0, 0xffe0
	s_mov_b64 s[6:7], -1
	v_ldexp_f64 v[6:7], v[2:3], s0
	s_mov_b32 s0, 0
	s_mov_b32 s1, 0xc1f00000
	v_floor_f64_e32 v[6:7], v[6:7]
	v_fma_f64 v[2:3], v[6:7], s[0:1], v[2:3]
	v_cvt_u32_f64_e32 v7, v[6:7]
	s_mov_b64 s[0:1], 0
	v_cvt_u32_f64_e32 v6, v[2:3]
	global_store_dwordx2 v[0:1], v[6:7], off
.LBB9_1932:
	s_mov_b64 s[10:11], 0
.LBB9_1933:
	s_and_b64 vcc, exec, s[10:11]
	s_cbranch_vccz .LBB9_1949
; %bb.1934:
	s_cmp_lt_i32 s15, 27
	s_mov_b64 s[6:7], -1
	s_cbranch_scc1 .LBB9_1940
; %bb.1935:
	s_cmp_gt_i32 s15, 27
	s_cbranch_scc0 .LBB9_1937
; %bb.1936:
	v_cvt_u32_f64_e32 v2, v[4:5]
	s_mov_b64 s[6:7], 0
	global_store_dword v[0:1], v2, off
.LBB9_1937:
	s_andn2_b64 vcc, exec, s[6:7]
	s_cbranch_vccnz .LBB9_1939
; %bb.1938:
	v_cvt_u32_f64_e32 v2, v[4:5]
	global_store_short v[0:1], v2, off
.LBB9_1939:
	s_mov_b64 s[6:7], 0
.LBB9_1940:
	s_andn2_b64 vcc, exec, s[6:7]
	s_cbranch_vccnz .LBB9_1948
; %bb.1941:
	v_cvt_f32_f64_e32 v2, v[4:5]
	s_mov_b32 s6, 0x43800000
	v_mov_b32_e32 v6, 0x80
	v_and_b32_e32 v3, 0x7fffffff, v2
	v_cmp_gt_u32_e32 vcc, s6, v3
	s_and_saveexec_b64 s[6:7], vcc
	s_cbranch_execz .LBB9_1947
; %bb.1942:
	s_mov_b32 s10, 0x3bffffff
	v_cmp_lt_u32_e32 vcc, s10, v3
	s_mov_b64 s[10:11], 0
                                        ; implicit-def: $vgpr3
	s_and_saveexec_b64 s[12:13], vcc
	s_xor_b64 s[12:13], exec, s[12:13]
	s_cbranch_execz .LBB9_2238
; %bb.1943:
	v_bfe_u32 v3, v2, 20, 1
	s_mov_b32 s16, 0x487ffff
	v_add3_u32 v3, v2, v3, s16
	s_mov_b64 s[10:11], exec
	v_lshrrev_b32_e32 v3, 20, v3
	s_andn2_saveexec_b64 s[12:13], s[12:13]
	s_cbranch_execnz .LBB9_2239
.LBB9_1944:
	s_or_b64 exec, exec, s[12:13]
	v_mov_b32_e32 v6, 0
	s_and_saveexec_b64 s[12:13], s[10:11]
.LBB9_1945:
	v_lshrrev_b32_e32 v2, 24, v2
	s_movk_i32 s10, 0x80
	v_and_or_b32 v6, v2, s10, v3
.LBB9_1946:
	s_or_b64 exec, exec, s[12:13]
.LBB9_1947:
	s_or_b64 exec, exec, s[6:7]
	global_store_byte v[0:1], v6, off
.LBB9_1948:
	s_mov_b64 s[6:7], -1
.LBB9_1949:
	s_mov_b64 s[10:11], 0
.LBB9_1950:
	s_and_b64 vcc, exec, s[10:11]
	s_cbranch_vccz .LBB9_1990
; %bb.1951:
	s_cmp_gt_i32 s15, 22
	s_mov_b64 s[4:5], -1
	s_cbranch_scc0 .LBB9_1983
; %bb.1952:
	s_cmp_lt_i32 s15, 24
	s_cbranch_scc1 .LBB9_1972
; %bb.1953:
	s_cmp_gt_i32 s15, 24
	s_cbranch_scc0 .LBB9_1961
; %bb.1954:
	v_cvt_f32_f64_e32 v2, v[4:5]
	s_mov_b32 s4, 0x47800000
	v_mov_b32_e32 v6, 0x80
	v_and_b32_e32 v3, 0x7fffffff, v2
	v_cmp_gt_u32_e32 vcc, s4, v3
	s_and_saveexec_b64 s[4:5], vcc
	s_cbranch_execz .LBB9_1960
; %bb.1955:
	s_mov_b32 s6, 0x37ffffff
	v_cmp_lt_u32_e32 vcc, s6, v3
	s_mov_b64 s[6:7], 0
                                        ; implicit-def: $vgpr3
	s_and_saveexec_b64 s[10:11], vcc
	s_xor_b64 s[10:11], exec, s[10:11]
	s_cbranch_execz .LBB9_2241
; %bb.1956:
	v_bfe_u32 v3, v2, 21, 1
	s_mov_b32 s12, 0x88fffff
	v_add3_u32 v3, v2, v3, s12
	s_mov_b64 s[6:7], exec
	v_lshrrev_b32_e32 v3, 21, v3
	s_andn2_saveexec_b64 s[10:11], s[10:11]
	s_cbranch_execnz .LBB9_2242
.LBB9_1957:
	s_or_b64 exec, exec, s[10:11]
	v_mov_b32_e32 v6, 0
	s_and_saveexec_b64 s[10:11], s[6:7]
.LBB9_1958:
	v_lshrrev_b32_e32 v2, 24, v2
	s_movk_i32 s6, 0x80
	v_and_or_b32 v6, v2, s6, v3
.LBB9_1959:
	s_or_b64 exec, exec, s[10:11]
.LBB9_1960:
	s_or_b64 exec, exec, s[4:5]
	s_mov_b64 s[4:5], 0
	global_store_byte v[0:1], v6, off
.LBB9_1961:
	s_and_b64 vcc, exec, s[4:5]
	s_cbranch_vccz .LBB9_1971
; %bb.1962:
	v_cvt_f32_f64_e32 v2, v[4:5]
	s_mov_b32 s4, 0x43f00000
                                        ; implicit-def: $vgpr3
	v_and_b32_e32 v6, 0x7fffffff, v2
	v_cmp_gt_u32_e32 vcc, s4, v6
	s_and_saveexec_b64 s[4:5], vcc
	s_xor_b64 s[4:5], exec, s[4:5]
	s_cbranch_execz .LBB9_1968
; %bb.1963:
	s_mov_b32 s6, 0x3c7fffff
	v_cmp_lt_u32_e32 vcc, s6, v6
                                        ; implicit-def: $vgpr3
	s_and_saveexec_b64 s[6:7], vcc
	s_xor_b64 s[6:7], exec, s[6:7]
; %bb.1964:
	v_bfe_u32 v3, v2, 20, 1
	s_mov_b32 s10, 0x407ffff
	v_add3_u32 v3, v2, v3, s10
	v_lshrrev_b32_e32 v6, 20, v3
	v_and_b32_e32 v3, 0xff00000, v3
	s_mov_b32 s10, 0x7f00000
	v_mov_b32_e32 v7, 0x7e
	v_cmp_ne_u32_e32 vcc, s10, v3
	v_cndmask_b32_e32 v3, v7, v6, vcc
; %bb.1965:
	s_andn2_saveexec_b64 s[6:7], s[6:7]
; %bb.1966:
	s_mov_b32 s10, 0x46800000
	v_add_f32_e64 v3, |v2|, s10
; %bb.1967:
	s_or_b64 exec, exec, s[6:7]
                                        ; implicit-def: $vgpr6
.LBB9_1968:
	s_andn2_saveexec_b64 s[4:5], s[4:5]
; %bb.1969:
	s_mov_b32 s6, 0x7f800000
	v_mov_b32_e32 v3, 0x7e
	v_mov_b32_e32 v7, 0x7f
	v_cmp_lt_u32_e32 vcc, s6, v6
	v_cndmask_b32_e32 v3, v3, v7, vcc
; %bb.1970:
	s_or_b64 exec, exec, s[4:5]
	v_lshrrev_b32_e32 v2, 24, v2
	s_movk_i32 s4, 0x80
	v_and_or_b32 v2, v2, s4, v3
	global_store_byte v[0:1], v2, off
.LBB9_1971:
	s_mov_b64 s[4:5], 0
.LBB9_1972:
	s_andn2_b64 vcc, exec, s[4:5]
	s_cbranch_vccnz .LBB9_1982
; %bb.1973:
	v_cvt_f32_f64_e32 v2, v[4:5]
	s_mov_b32 s4, 0x47800000
                                        ; implicit-def: $vgpr3
	v_and_b32_e32 v6, 0x7fffffff, v2
	v_cmp_gt_u32_e32 vcc, s4, v6
	s_and_saveexec_b64 s[4:5], vcc
	s_xor_b64 s[4:5], exec, s[4:5]
	s_cbranch_execz .LBB9_1979
; %bb.1974:
	s_mov_b32 s6, 0x387fffff
	v_cmp_lt_u32_e32 vcc, s6, v6
                                        ; implicit-def: $vgpr3
	s_and_saveexec_b64 s[6:7], vcc
	s_xor_b64 s[6:7], exec, s[6:7]
; %bb.1975:
	v_bfe_u32 v3, v2, 21, 1
	s_mov_b32 s10, 0x80fffff
	v_add3_u32 v3, v2, v3, s10
	v_lshrrev_b32_e32 v3, 21, v3
; %bb.1976:
	s_andn2_saveexec_b64 s[6:7], s[6:7]
; %bb.1977:
	s_mov_b32 s10, 0x43000000
	v_add_f32_e64 v3, |v2|, s10
; %bb.1978:
	s_or_b64 exec, exec, s[6:7]
                                        ; implicit-def: $vgpr6
.LBB9_1979:
	s_andn2_saveexec_b64 s[4:5], s[4:5]
; %bb.1980:
	s_mov_b32 s6, 0x7f800000
	v_mov_b32_e32 v3, 0x7c
	v_mov_b32_e32 v7, 0x7f
	v_cmp_lt_u32_e32 vcc, s6, v6
	v_cndmask_b32_e32 v3, v3, v7, vcc
; %bb.1981:
	s_or_b64 exec, exec, s[4:5]
	v_lshrrev_b32_e32 v2, 24, v2
	s_movk_i32 s4, 0x80
	v_and_or_b32 v2, v2, s4, v3
	global_store_byte v[0:1], v2, off
.LBB9_1982:
	s_mov_b64 s[4:5], 0
	s_mov_b64 s[6:7], -1
.LBB9_1983:
	s_andn2_b64 vcc, exec, s[4:5]
	s_mov_b64 s[4:5], 0
	s_cbranch_vccnz .LBB9_1990
; %bb.1984:
	s_cmp_gt_i32 s15, 14
	s_mov_b64 s[10:11], -1
	s_cbranch_scc0 .LBB9_1988
; %bb.1985:
	s_cmp_eq_u32 s15, 15
	s_mov_b64 s[0:1], -1
	s_cbranch_scc0 .LBB9_1987
; %bb.1986:
	v_cvt_f32_f64_e32 v2, v[4:5]
	s_movk_i32 s0, 0x7fff
	v_mov_b32_e32 v3, 0x7fc0
	s_mov_b64 s[6:7], -1
	v_bfe_u32 v6, v2, 16, 1
	v_cmp_o_f32_e32 vcc, v2, v2
	v_add3_u32 v2, v2, v6, s0
	v_cndmask_b32_sdwa v2, v3, v2, vcc dst_sel:DWORD dst_unused:UNUSED_PAD src0_sel:DWORD src1_sel:WORD_1
	global_store_short v[0:1], v2, off
	s_mov_b64 s[0:1], 0
.LBB9_1987:
	s_mov_b64 s[10:11], 0
.LBB9_1988:
	s_and_b64 vcc, exec, s[10:11]
	s_cbranch_vccz .LBB9_1990
; %bb.1989:
	s_cmp_lg_u32 s15, 11
	s_mov_b64 s[4:5], -1
	s_cselect_b64 s[0:1], -1, 0
.LBB9_1990:
	s_and_b64 vcc, exec, s[0:1]
	s_cbranch_vccnz .LBB9_2240
; %bb.1991:
	s_andn2_b64 vcc, exec, s[4:5]
	s_cbranch_vccnz .LBB9_1993
.LBB9_1992:
	v_cmp_neq_f64_e32 vcc, 0, v[4:5]
	s_mov_b64 s[6:7], -1
	v_cndmask_b32_e64 v2, 0, 1, vcc
	global_store_byte v[0:1], v2, off
.LBB9_1993:
	s_mov_b64 s[0:1], 0
	s_branch .LBB9_1995
.LBB9_1994:
	s_mov_b64 s[0:1], -1
	s_mov_b64 s[6:7], 0
.LBB9_1995:
	s_and_b64 vcc, exec, s[0:1]
	s_cbranch_vccz .LBB9_2034
; %bb.1996:
	s_and_b32 s4, 0xffff, s14
	s_cmp_lt_i32 s4, 5
	s_mov_b64 s[0:1], -1
	s_cbranch_scc1 .LBB9_2017
; %bb.1997:
	s_cmp_lt_i32 s4, 8
	s_cbranch_scc1 .LBB9_2007
; %bb.1998:
	s_cmp_lt_i32 s4, 9
	s_cbranch_scc1 .LBB9_2004
; %bb.1999:
	s_cmp_gt_i32 s4, 9
	s_cbranch_scc0 .LBB9_2001
; %bb.2000:
	v_mov_b32_e32 v6, 0
	v_mov_b32_e32 v7, v6
	global_store_dwordx4 v[0:1], v[4:7], off
	s_mov_b64 s[0:1], 0
.LBB9_2001:
	s_andn2_b64 vcc, exec, s[0:1]
	s_cbranch_vccnz .LBB9_2003
; %bb.2002:
	v_cvt_f32_f64_e32 v2, v[4:5]
	v_mov_b32_e32 v3, 0
	global_store_dwordx2 v[0:1], v[2:3], off
.LBB9_2003:
	s_mov_b64 s[0:1], 0
.LBB9_2004:
	s_andn2_b64 vcc, exec, s[0:1]
	s_cbranch_vccnz .LBB9_2006
; %bb.2005:
	s_movk_i32 s0, 0x1ff
	v_and_or_b32 v2, v5, s0, v4
	v_cmp_ne_u32_e32 vcc, 0, v2
	v_cndmask_b32_e64 v2, 0, 1, vcc
	v_lshrrev_b32_e32 v3, 8, v5
	s_movk_i32 s0, 0xffe
	v_bfe_u32 v6, v5, 20, 11
	v_and_or_b32 v2, v3, s0, v2
	v_sub_u32_e32 v7, 0x3f1, v6
	v_or_b32_e32 v3, 0x1000, v2
	v_med3_i32 v7, v7, 0, 13
	v_lshrrev_b32_e32 v11, v7, v3
	v_lshlrev_b32_e32 v7, v7, v11
	v_cmp_ne_u32_e32 vcc, v7, v3
	v_cndmask_b32_e64 v3, 0, 1, vcc
	v_add_u32_e32 v6, 0xfffffc10, v6
	v_or_b32_e32 v3, v11, v3
	v_lshl_or_b32 v7, v6, 12, v2
	v_cmp_gt_i32_e32 vcc, 1, v6
	v_cndmask_b32_e32 v3, v7, v3, vcc
	v_and_b32_e32 v7, 7, v3
	v_cmp_lt_i32_e32 vcc, 5, v7
	v_cndmask_b32_e64 v11, 0, 1, vcc
	v_cmp_eq_u32_e32 vcc, 3, v7
	v_cndmask_b32_e64 v7, 0, 1, vcc
	v_or_b32_e32 v7, v7, v11
	v_lshrrev_b32_e32 v3, 2, v3
	v_add_u32_e32 v3, v3, v7
	v_mov_b32_e32 v7, 0x7c00
	v_cmp_gt_i32_e32 vcc, 31, v6
	v_cndmask_b32_e32 v3, v7, v3, vcc
	v_mov_b32_e32 v11, 0x7e00
	v_cmp_ne_u32_e32 vcc, 0, v2
	s_movk_i32 s0, 0x40f
	v_cndmask_b32_e32 v2, v7, v11, vcc
	v_cmp_eq_u32_e32 vcc, s0, v6
	v_cndmask_b32_e32 v2, v3, v2, vcc
	v_lshrrev_b32_e32 v3, 16, v5
	s_mov_b32 s0, 0x8000
	v_and_or_b32 v2, v3, s0, v2
	v_and_b32_e32 v2, 0xffff, v2
	global_store_dword v[0:1], v2, off
.LBB9_2006:
	s_mov_b64 s[0:1], 0
.LBB9_2007:
	s_andn2_b64 vcc, exec, s[0:1]
	s_cbranch_vccnz .LBB9_2016
; %bb.2008:
	s_cmp_lt_i32 s4, 6
	s_mov_b64 s[0:1], -1
	s_cbranch_scc1 .LBB9_2014
; %bb.2009:
	s_cmp_gt_i32 s4, 6
	s_cbranch_scc0 .LBB9_2011
; %bb.2010:
	global_store_dwordx2 v[0:1], v[4:5], off
	s_mov_b64 s[0:1], 0
.LBB9_2011:
	s_andn2_b64 vcc, exec, s[0:1]
	s_cbranch_vccnz .LBB9_2013
; %bb.2012:
	v_cvt_f32_f64_e32 v2, v[4:5]
	global_store_dword v[0:1], v2, off
.LBB9_2013:
	s_mov_b64 s[0:1], 0
.LBB9_2014:
	s_andn2_b64 vcc, exec, s[0:1]
	s_cbranch_vccnz .LBB9_2016
; %bb.2015:
	s_movk_i32 s0, 0x1ff
	v_and_or_b32 v2, v5, s0, v4
	v_cmp_ne_u32_e32 vcc, 0, v2
	v_cndmask_b32_e64 v2, 0, 1, vcc
	v_lshrrev_b32_e32 v3, 8, v5
	s_movk_i32 s0, 0xffe
	v_bfe_u32 v6, v5, 20, 11
	v_and_or_b32 v2, v3, s0, v2
	v_sub_u32_e32 v7, 0x3f1, v6
	v_or_b32_e32 v3, 0x1000, v2
	v_med3_i32 v7, v7, 0, 13
	v_lshrrev_b32_e32 v11, v7, v3
	v_lshlrev_b32_e32 v7, v7, v11
	v_cmp_ne_u32_e32 vcc, v7, v3
	v_cndmask_b32_e64 v3, 0, 1, vcc
	v_add_u32_e32 v6, 0xfffffc10, v6
	v_or_b32_e32 v3, v11, v3
	v_lshl_or_b32 v7, v6, 12, v2
	v_cmp_gt_i32_e32 vcc, 1, v6
	v_cndmask_b32_e32 v3, v7, v3, vcc
	v_and_b32_e32 v7, 7, v3
	v_cmp_lt_i32_e32 vcc, 5, v7
	v_cndmask_b32_e64 v11, 0, 1, vcc
	v_cmp_eq_u32_e32 vcc, 3, v7
	v_cndmask_b32_e64 v7, 0, 1, vcc
	v_or_b32_e32 v7, v7, v11
	v_lshrrev_b32_e32 v3, 2, v3
	v_add_u32_e32 v3, v3, v7
	v_mov_b32_e32 v7, 0x7c00
	v_cmp_gt_i32_e32 vcc, 31, v6
	v_cndmask_b32_e32 v3, v7, v3, vcc
	v_mov_b32_e32 v11, 0x7e00
	v_cmp_ne_u32_e32 vcc, 0, v2
	s_movk_i32 s0, 0x40f
	v_cndmask_b32_e32 v2, v7, v11, vcc
	v_cmp_eq_u32_e32 vcc, s0, v6
	v_cndmask_b32_e32 v2, v3, v2, vcc
	v_lshrrev_b32_e32 v3, 16, v5
	s_mov_b32 s0, 0x8000
	v_and_or_b32 v2, v3, s0, v2
	global_store_short v[0:1], v2, off
.LBB9_2016:
	s_mov_b64 s[0:1], 0
.LBB9_2017:
	s_andn2_b64 vcc, exec, s[0:1]
	s_cbranch_vccnz .LBB9_2033
; %bb.2018:
	s_cmp_lt_i32 s4, 2
	s_mov_b64 s[0:1], -1
	s_cbranch_scc1 .LBB9_2028
; %bb.2019:
	s_cmp_lt_i32 s4, 3
	s_cbranch_scc1 .LBB9_2025
; %bb.2020:
	s_cmp_gt_i32 s4, 3
	s_cbranch_scc0 .LBB9_2022
; %bb.2021:
	v_trunc_f64_e32 v[2:3], v[4:5]
	s_movk_i32 s0, 0xffe0
	v_ldexp_f64 v[6:7], v[2:3], s0
	s_mov_b32 s0, 0
	s_mov_b32 s1, 0xc1f00000
	v_floor_f64_e32 v[6:7], v[6:7]
	v_fma_f64 v[2:3], v[6:7], s[0:1], v[2:3]
	v_cvt_i32_f64_e32 v7, v[6:7]
	s_mov_b64 s[0:1], 0
	v_cvt_u32_f64_e32 v6, v[2:3]
	global_store_dwordx2 v[0:1], v[6:7], off
.LBB9_2022:
	s_andn2_b64 vcc, exec, s[0:1]
	s_cbranch_vccnz .LBB9_2024
; %bb.2023:
	v_cvt_i32_f64_e32 v2, v[4:5]
	global_store_dword v[0:1], v2, off
.LBB9_2024:
	s_mov_b64 s[0:1], 0
.LBB9_2025:
	s_andn2_b64 vcc, exec, s[0:1]
	s_cbranch_vccnz .LBB9_2027
; %bb.2026:
	v_cvt_i32_f64_e32 v2, v[4:5]
	global_store_short v[0:1], v2, off
.LBB9_2027:
	s_mov_b64 s[0:1], 0
.LBB9_2028:
	s_andn2_b64 vcc, exec, s[0:1]
	s_cbranch_vccnz .LBB9_2033
; %bb.2029:
	s_cmp_gt_i32 s4, 0
	s_mov_b64 s[0:1], -1
	s_cbranch_scc0 .LBB9_2031
; %bb.2030:
	v_cvt_i32_f64_e32 v2, v[4:5]
	s_mov_b64 s[0:1], 0
	global_store_byte v[0:1], v2, off
.LBB9_2031:
	s_andn2_b64 vcc, exec, s[0:1]
	s_cbranch_vccnz .LBB9_2033
; %bb.2032:
	v_trunc_f64_e32 v[2:3], v[4:5]
	s_movk_i32 s0, 0xffe0
	v_ldexp_f64 v[4:5], v[2:3], s0
	s_mov_b32 s0, 0
	s_mov_b32 s1, 0xc1f00000
	v_floor_f64_e32 v[4:5], v[4:5]
	v_fma_f64 v[2:3], v[4:5], s[0:1], v[2:3]
	v_cvt_u32_f64_e32 v2, v[2:3]
	global_store_byte v[0:1], v2, off
.LBB9_2033:
	s_mov_b64 s[6:7], -1
.LBB9_2034:
	s_andn2_b64 vcc, exec, s[6:7]
	s_cbranch_vccnz .LBB9_2230
; %bb.2035:
	v_mov_b32_e32 v1, s9
	v_add_co_u32_e32 v0, vcc, s8, v10
	s_cmp_lt_i32 s14, 11
	v_addc_co_u32_e32 v1, vcc, 0, v1, vcc
	s_cbranch_scc1 .LBB9_2113
; %bb.2036:
	s_and_b32 s15, 0xffff, s14
	s_mov_b64 s[10:11], -1
	s_mov_b64 s[4:5], 0
	s_cmp_gt_i32 s15, 25
	s_mov_b64 s[6:7], 0
	s_mov_b64 s[0:1], 0
	s_cbranch_scc0 .LBB9_2069
; %bb.2037:
	s_cmp_gt_i32 s15, 28
	s_cbranch_scc0 .LBB9_2052
; %bb.2038:
	s_cmp_gt_i32 s15, 43
	;; [unrolled: 3-line block ×3, first 2 shown]
	s_cbranch_scc0 .LBB9_2042
; %bb.2040:
	s_mov_b64 s[0:1], -1
	s_mov_b64 s[10:11], 0
	s_cmp_eq_u32 s15, 46
	s_cbranch_scc0 .LBB9_2042
; %bb.2041:
	v_cvt_f32_f64_e32 v2, v[8:9]
	s_movk_i32 s0, 0x7fff
	v_mov_b32_e32 v3, 0x7fc0
	s_mov_b64 s[6:7], -1
	v_bfe_u32 v4, v2, 16, 1
	v_cmp_o_f32_e32 vcc, v2, v2
	v_add3_u32 v2, v2, v4, s0
	v_cndmask_b32_sdwa v2, v3, v2, vcc dst_sel:DWORD dst_unused:UNUSED_PAD src0_sel:DWORD src1_sel:WORD_1
	global_store_dword v[0:1], v2, off
	s_mov_b64 s[0:1], 0
.LBB9_2042:
	s_and_b64 vcc, exec, s[10:11]
	s_cbranch_vccz .LBB9_2047
; %bb.2043:
	s_cmp_eq_u32 s15, 44
	s_mov_b64 s[0:1], -1
	s_cbranch_scc0 .LBB9_2047
; %bb.2044:
	v_cvt_f32_f64_e32 v2, v[8:9]
	s_movk_i32 s0, 0xff
	v_mov_b32_e32 v4, 0xff
	v_bfe_u32 v3, v2, 23, 8
	v_cmp_ne_u32_e32 vcc, s0, v3
	s_and_saveexec_b64 s[6:7], vcc
; %bb.2045:
	s_mov_b32 s0, 0x3fffff
	v_lshrrev_b32_e32 v4, 23, v2
	v_and_b32_e32 v5, 0x400000, v2
	v_and_or_b32 v2, v2, s0, v3
	v_cmp_ne_u32_e32 vcc, 0, v5
	v_cmp_ne_u32_e64 s[0:1], 0, v2
	s_and_b64 s[0:1], vcc, s[0:1]
	v_cndmask_b32_e64 v2, 0, 1, s[0:1]
	v_add_u32_e32 v4, v4, v2
; %bb.2046:
	s_or_b64 exec, exec, s[6:7]
	s_mov_b64 s[0:1], 0
	s_mov_b64 s[6:7], -1
	global_store_byte v[0:1], v4, off
.LBB9_2047:
	s_mov_b64 s[10:11], 0
.LBB9_2048:
	s_and_b64 vcc, exec, s[10:11]
	s_cbranch_vccz .LBB9_2051
; %bb.2049:
	s_cmp_eq_u32 s15, 29
	s_mov_b64 s[0:1], -1
	s_cbranch_scc0 .LBB9_2051
; %bb.2050:
	v_trunc_f64_e32 v[2:3], v[8:9]
	s_movk_i32 s0, 0xffe0
	s_mov_b64 s[6:7], -1
	v_ldexp_f64 v[4:5], v[2:3], s0
	s_mov_b32 s0, 0
	s_mov_b32 s1, 0xc1f00000
	v_floor_f64_e32 v[4:5], v[4:5]
	v_fma_f64 v[2:3], v[4:5], s[0:1], v[2:3]
	v_cvt_u32_f64_e32 v4, v[4:5]
	s_mov_b64 s[0:1], 0
	v_cvt_u32_f64_e32 v3, v[2:3]
	global_store_dwordx2 v[0:1], v[3:4], off
.LBB9_2051:
	s_mov_b64 s[10:11], 0
.LBB9_2052:
	s_and_b64 vcc, exec, s[10:11]
	s_cbranch_vccz .LBB9_2068
; %bb.2053:
	s_cmp_lt_i32 s15, 27
	s_mov_b64 s[6:7], -1
	s_cbranch_scc1 .LBB9_2059
; %bb.2054:
	v_cvt_u32_f64_e32 v2, v[8:9]
	s_cmp_gt_i32 s15, 27
	s_cbranch_scc0 .LBB9_2056
; %bb.2055:
	s_mov_b64 s[6:7], 0
	global_store_dword v[0:1], v2, off
.LBB9_2056:
	s_andn2_b64 vcc, exec, s[6:7]
	s_cbranch_vccnz .LBB9_2058
; %bb.2057:
	global_store_short v[0:1], v2, off
.LBB9_2058:
	s_mov_b64 s[6:7], 0
.LBB9_2059:
	s_andn2_b64 vcc, exec, s[6:7]
	s_cbranch_vccnz .LBB9_2067
; %bb.2060:
	v_cvt_f32_f64_e32 v2, v[8:9]
	s_mov_b32 s6, 0x43800000
	v_mov_b32_e32 v4, 0x80
	v_and_b32_e32 v3, 0x7fffffff, v2
	v_cmp_gt_u32_e32 vcc, s6, v3
	s_and_saveexec_b64 s[6:7], vcc
	s_cbranch_execz .LBB9_2066
; %bb.2061:
	s_mov_b32 s10, 0x3bffffff
	v_cmp_lt_u32_e32 vcc, s10, v3
	s_mov_b64 s[10:11], 0
                                        ; implicit-def: $vgpr3
	s_and_saveexec_b64 s[12:13], vcc
	s_xor_b64 s[12:13], exec, s[12:13]
	s_cbranch_execz .LBB9_2243
; %bb.2062:
	v_bfe_u32 v3, v2, 20, 1
	s_mov_b32 s16, 0x487ffff
	v_add3_u32 v3, v2, v3, s16
	s_mov_b64 s[10:11], exec
	v_lshrrev_b32_e32 v3, 20, v3
	s_andn2_saveexec_b64 s[12:13], s[12:13]
	s_cbranch_execnz .LBB9_2244
.LBB9_2063:
	s_or_b64 exec, exec, s[12:13]
	v_mov_b32_e32 v4, 0
	s_and_saveexec_b64 s[12:13], s[10:11]
.LBB9_2064:
	v_lshrrev_b32_e32 v2, 24, v2
	s_movk_i32 s10, 0x80
	v_and_or_b32 v4, v2, s10, v3
.LBB9_2065:
	s_or_b64 exec, exec, s[12:13]
.LBB9_2066:
	s_or_b64 exec, exec, s[6:7]
	global_store_byte v[0:1], v4, off
.LBB9_2067:
	s_mov_b64 s[6:7], -1
.LBB9_2068:
	s_mov_b64 s[10:11], 0
.LBB9_2069:
	s_and_b64 vcc, exec, s[10:11]
	s_cbranch_vccz .LBB9_2109
; %bb.2070:
	s_cmp_gt_i32 s15, 22
	s_mov_b64 s[4:5], -1
	s_cbranch_scc0 .LBB9_2102
; %bb.2071:
	s_cmp_lt_i32 s15, 24
	s_cbranch_scc1 .LBB9_2091
; %bb.2072:
	s_cmp_gt_i32 s15, 24
	s_cbranch_scc0 .LBB9_2080
; %bb.2073:
	v_cvt_f32_f64_e32 v2, v[8:9]
	s_mov_b32 s4, 0x47800000
	v_mov_b32_e32 v4, 0x80
	v_and_b32_e32 v3, 0x7fffffff, v2
	v_cmp_gt_u32_e32 vcc, s4, v3
	s_and_saveexec_b64 s[4:5], vcc
	s_cbranch_execz .LBB9_2079
; %bb.2074:
	s_mov_b32 s6, 0x37ffffff
	v_cmp_lt_u32_e32 vcc, s6, v3
	s_mov_b64 s[6:7], 0
                                        ; implicit-def: $vgpr3
	s_and_saveexec_b64 s[10:11], vcc
	s_xor_b64 s[10:11], exec, s[10:11]
	s_cbranch_execz .LBB9_2246
; %bb.2075:
	v_bfe_u32 v3, v2, 21, 1
	s_mov_b32 s12, 0x88fffff
	v_add3_u32 v3, v2, v3, s12
	s_mov_b64 s[6:7], exec
	v_lshrrev_b32_e32 v3, 21, v3
	s_andn2_saveexec_b64 s[10:11], s[10:11]
	s_cbranch_execnz .LBB9_2247
.LBB9_2076:
	s_or_b64 exec, exec, s[10:11]
	v_mov_b32_e32 v4, 0
	s_and_saveexec_b64 s[10:11], s[6:7]
.LBB9_2077:
	v_lshrrev_b32_e32 v2, 24, v2
	s_movk_i32 s6, 0x80
	v_and_or_b32 v4, v2, s6, v3
.LBB9_2078:
	s_or_b64 exec, exec, s[10:11]
.LBB9_2079:
	s_or_b64 exec, exec, s[4:5]
	s_mov_b64 s[4:5], 0
	global_store_byte v[0:1], v4, off
.LBB9_2080:
	s_and_b64 vcc, exec, s[4:5]
	s_cbranch_vccz .LBB9_2090
; %bb.2081:
	v_cvt_f32_f64_e32 v2, v[8:9]
	s_mov_b32 s4, 0x43f00000
                                        ; implicit-def: $vgpr3
	v_and_b32_e32 v4, 0x7fffffff, v2
	v_cmp_gt_u32_e32 vcc, s4, v4
	s_and_saveexec_b64 s[4:5], vcc
	s_xor_b64 s[4:5], exec, s[4:5]
	s_cbranch_execz .LBB9_2087
; %bb.2082:
	s_mov_b32 s6, 0x3c7fffff
	v_cmp_lt_u32_e32 vcc, s6, v4
                                        ; implicit-def: $vgpr3
	s_and_saveexec_b64 s[6:7], vcc
	s_xor_b64 s[6:7], exec, s[6:7]
; %bb.2083:
	v_bfe_u32 v3, v2, 20, 1
	s_mov_b32 s10, 0x407ffff
	v_add3_u32 v3, v2, v3, s10
	v_lshrrev_b32_e32 v4, 20, v3
	v_and_b32_e32 v3, 0xff00000, v3
	s_mov_b32 s10, 0x7f00000
	v_mov_b32_e32 v5, 0x7e
	v_cmp_ne_u32_e32 vcc, s10, v3
	v_cndmask_b32_e32 v3, v5, v4, vcc
; %bb.2084:
	s_andn2_saveexec_b64 s[6:7], s[6:7]
; %bb.2085:
	s_mov_b32 s10, 0x46800000
	v_add_f32_e64 v3, |v2|, s10
; %bb.2086:
	s_or_b64 exec, exec, s[6:7]
                                        ; implicit-def: $vgpr4
.LBB9_2087:
	s_andn2_saveexec_b64 s[4:5], s[4:5]
; %bb.2088:
	s_mov_b32 s6, 0x7f800000
	v_mov_b32_e32 v3, 0x7e
	v_mov_b32_e32 v5, 0x7f
	v_cmp_lt_u32_e32 vcc, s6, v4
	v_cndmask_b32_e32 v3, v3, v5, vcc
; %bb.2089:
	s_or_b64 exec, exec, s[4:5]
	v_lshrrev_b32_e32 v2, 24, v2
	s_movk_i32 s4, 0x80
	v_and_or_b32 v2, v2, s4, v3
	global_store_byte v[0:1], v2, off
.LBB9_2090:
	s_mov_b64 s[4:5], 0
.LBB9_2091:
	s_andn2_b64 vcc, exec, s[4:5]
	s_cbranch_vccnz .LBB9_2101
; %bb.2092:
	v_cvt_f32_f64_e32 v2, v[8:9]
	s_mov_b32 s4, 0x47800000
                                        ; implicit-def: $vgpr3
	v_and_b32_e32 v4, 0x7fffffff, v2
	v_cmp_gt_u32_e32 vcc, s4, v4
	s_and_saveexec_b64 s[4:5], vcc
	s_xor_b64 s[4:5], exec, s[4:5]
	s_cbranch_execz .LBB9_2098
; %bb.2093:
	s_mov_b32 s6, 0x387fffff
	v_cmp_lt_u32_e32 vcc, s6, v4
                                        ; implicit-def: $vgpr3
	s_and_saveexec_b64 s[6:7], vcc
	s_xor_b64 s[6:7], exec, s[6:7]
; %bb.2094:
	v_bfe_u32 v3, v2, 21, 1
	s_mov_b32 s10, 0x80fffff
	v_add3_u32 v3, v2, v3, s10
	v_lshrrev_b32_e32 v3, 21, v3
; %bb.2095:
	s_andn2_saveexec_b64 s[6:7], s[6:7]
; %bb.2096:
	s_mov_b32 s10, 0x43000000
	v_add_f32_e64 v3, |v2|, s10
; %bb.2097:
	s_or_b64 exec, exec, s[6:7]
                                        ; implicit-def: $vgpr4
.LBB9_2098:
	s_andn2_saveexec_b64 s[4:5], s[4:5]
; %bb.2099:
	s_mov_b32 s6, 0x7f800000
	v_mov_b32_e32 v3, 0x7c
	v_mov_b32_e32 v5, 0x7f
	v_cmp_lt_u32_e32 vcc, s6, v4
	v_cndmask_b32_e32 v3, v3, v5, vcc
; %bb.2100:
	s_or_b64 exec, exec, s[4:5]
	v_lshrrev_b32_e32 v2, 24, v2
	s_movk_i32 s4, 0x80
	v_and_or_b32 v2, v2, s4, v3
	global_store_byte v[0:1], v2, off
.LBB9_2101:
	s_mov_b64 s[4:5], 0
	s_mov_b64 s[6:7], -1
.LBB9_2102:
	s_andn2_b64 vcc, exec, s[4:5]
	s_mov_b64 s[4:5], 0
	s_cbranch_vccnz .LBB9_2109
; %bb.2103:
	s_cmp_gt_i32 s15, 14
	s_mov_b64 s[10:11], -1
	s_cbranch_scc0 .LBB9_2107
; %bb.2104:
	s_cmp_eq_u32 s15, 15
	s_mov_b64 s[0:1], -1
	s_cbranch_scc0 .LBB9_2106
; %bb.2105:
	v_cvt_f32_f64_e32 v2, v[8:9]
	s_movk_i32 s0, 0x7fff
	v_mov_b32_e32 v3, 0x7fc0
	s_mov_b64 s[6:7], -1
	v_bfe_u32 v4, v2, 16, 1
	v_cmp_o_f32_e32 vcc, v2, v2
	v_add3_u32 v2, v2, v4, s0
	v_cndmask_b32_sdwa v2, v3, v2, vcc dst_sel:DWORD dst_unused:UNUSED_PAD src0_sel:DWORD src1_sel:WORD_1
	global_store_short v[0:1], v2, off
	s_mov_b64 s[0:1], 0
.LBB9_2106:
	s_mov_b64 s[10:11], 0
.LBB9_2107:
	s_and_b64 vcc, exec, s[10:11]
	s_cbranch_vccz .LBB9_2109
; %bb.2108:
	s_cmp_lg_u32 s15, 11
	s_mov_b64 s[4:5], -1
	s_cselect_b64 s[0:1], -1, 0
.LBB9_2109:
	s_and_b64 vcc, exec, s[0:1]
	s_cbranch_vccnz .LBB9_2245
; %bb.2110:
	s_andn2_b64 vcc, exec, s[4:5]
	s_cbranch_vccnz .LBB9_2112
.LBB9_2111:
	v_cmp_neq_f64_e32 vcc, 0, v[8:9]
	s_mov_b64 s[6:7], -1
	v_cndmask_b32_e64 v2, 0, 1, vcc
	global_store_byte v[0:1], v2, off
.LBB9_2112:
	s_mov_b64 s[0:1], 0
	s_branch .LBB9_2114
.LBB9_2113:
	s_mov_b64 s[0:1], -1
	s_mov_b64 s[6:7], 0
.LBB9_2114:
	s_and_b64 vcc, exec, s[0:1]
	s_cbranch_vccz .LBB9_2153
; %bb.2115:
	s_and_b32 s4, 0xffff, s14
	s_cmp_lt_i32 s4, 5
	s_mov_b64 s[0:1], -1
	s_cbranch_scc1 .LBB9_2136
; %bb.2116:
	s_cmp_lt_i32 s4, 8
	s_cbranch_scc1 .LBB9_2126
; %bb.2117:
	s_cmp_lt_i32 s4, 9
	s_cbranch_scc1 .LBB9_2123
; %bb.2118:
	s_cmp_gt_i32 s4, 9
	s_cbranch_scc0 .LBB9_2120
; %bb.2119:
	v_mov_b32_e32 v10, 0
	v_mov_b32_e32 v11, v10
	global_store_dwordx4 v[0:1], v[8:11], off
	s_mov_b64 s[0:1], 0
.LBB9_2120:
	s_andn2_b64 vcc, exec, s[0:1]
	s_cbranch_vccnz .LBB9_2122
; %bb.2121:
	v_cvt_f32_f64_e32 v2, v[8:9]
	v_mov_b32_e32 v3, 0
	global_store_dwordx2 v[0:1], v[2:3], off
.LBB9_2122:
	s_mov_b64 s[0:1], 0
.LBB9_2123:
	s_andn2_b64 vcc, exec, s[0:1]
	s_cbranch_vccnz .LBB9_2125
; %bb.2124:
	s_movk_i32 s0, 0x1ff
	v_and_or_b32 v2, v9, s0, v8
	v_cmp_ne_u32_e32 vcc, 0, v2
	v_cndmask_b32_e64 v2, 0, 1, vcc
	v_lshrrev_b32_e32 v3, 8, v9
	s_movk_i32 s0, 0xffe
	v_bfe_u32 v4, v9, 20, 11
	v_and_or_b32 v2, v3, s0, v2
	v_sub_u32_e32 v5, 0x3f1, v4
	v_or_b32_e32 v3, 0x1000, v2
	v_med3_i32 v5, v5, 0, 13
	v_lshrrev_b32_e32 v6, v5, v3
	v_lshlrev_b32_e32 v5, v5, v6
	v_cmp_ne_u32_e32 vcc, v5, v3
	v_cndmask_b32_e64 v3, 0, 1, vcc
	v_add_u32_e32 v4, 0xfffffc10, v4
	v_or_b32_e32 v3, v6, v3
	v_lshl_or_b32 v5, v4, 12, v2
	v_cmp_gt_i32_e32 vcc, 1, v4
	v_cndmask_b32_e32 v3, v5, v3, vcc
	v_and_b32_e32 v5, 7, v3
	v_cmp_lt_i32_e32 vcc, 5, v5
	v_cndmask_b32_e64 v6, 0, 1, vcc
	v_cmp_eq_u32_e32 vcc, 3, v5
	v_cndmask_b32_e64 v5, 0, 1, vcc
	v_or_b32_e32 v5, v5, v6
	v_lshrrev_b32_e32 v3, 2, v3
	v_add_u32_e32 v3, v3, v5
	v_mov_b32_e32 v5, 0x7c00
	v_cmp_gt_i32_e32 vcc, 31, v4
	v_cndmask_b32_e32 v3, v5, v3, vcc
	v_mov_b32_e32 v6, 0x7e00
	v_cmp_ne_u32_e32 vcc, 0, v2
	s_movk_i32 s0, 0x40f
	v_cndmask_b32_e32 v2, v5, v6, vcc
	v_cmp_eq_u32_e32 vcc, s0, v4
	v_cndmask_b32_e32 v2, v3, v2, vcc
	v_lshrrev_b32_e32 v3, 16, v9
	s_mov_b32 s0, 0x8000
	v_and_or_b32 v2, v3, s0, v2
	v_and_b32_e32 v2, 0xffff, v2
	global_store_dword v[0:1], v2, off
.LBB9_2125:
	s_mov_b64 s[0:1], 0
.LBB9_2126:
	s_andn2_b64 vcc, exec, s[0:1]
	s_cbranch_vccnz .LBB9_2135
; %bb.2127:
	s_cmp_lt_i32 s4, 6
	s_mov_b64 s[0:1], -1
	s_cbranch_scc1 .LBB9_2133
; %bb.2128:
	s_cmp_gt_i32 s4, 6
	s_cbranch_scc0 .LBB9_2130
; %bb.2129:
	global_store_dwordx2 v[0:1], v[8:9], off
	s_mov_b64 s[0:1], 0
.LBB9_2130:
	s_andn2_b64 vcc, exec, s[0:1]
	s_cbranch_vccnz .LBB9_2132
; %bb.2131:
	v_cvt_f32_f64_e32 v2, v[8:9]
	global_store_dword v[0:1], v2, off
.LBB9_2132:
	s_mov_b64 s[0:1], 0
.LBB9_2133:
	s_andn2_b64 vcc, exec, s[0:1]
	s_cbranch_vccnz .LBB9_2135
; %bb.2134:
	s_movk_i32 s0, 0x1ff
	v_and_or_b32 v2, v9, s0, v8
	v_cmp_ne_u32_e32 vcc, 0, v2
	v_cndmask_b32_e64 v2, 0, 1, vcc
	v_lshrrev_b32_e32 v3, 8, v9
	s_movk_i32 s0, 0xffe
	v_bfe_u32 v4, v9, 20, 11
	v_and_or_b32 v2, v3, s0, v2
	v_sub_u32_e32 v5, 0x3f1, v4
	v_or_b32_e32 v3, 0x1000, v2
	v_med3_i32 v5, v5, 0, 13
	v_lshrrev_b32_e32 v6, v5, v3
	v_lshlrev_b32_e32 v5, v5, v6
	v_cmp_ne_u32_e32 vcc, v5, v3
	v_cndmask_b32_e64 v3, 0, 1, vcc
	v_add_u32_e32 v4, 0xfffffc10, v4
	v_or_b32_e32 v3, v6, v3
	v_lshl_or_b32 v5, v4, 12, v2
	v_cmp_gt_i32_e32 vcc, 1, v4
	v_cndmask_b32_e32 v3, v5, v3, vcc
	v_and_b32_e32 v5, 7, v3
	v_cmp_lt_i32_e32 vcc, 5, v5
	v_cndmask_b32_e64 v6, 0, 1, vcc
	v_cmp_eq_u32_e32 vcc, 3, v5
	v_cndmask_b32_e64 v5, 0, 1, vcc
	v_or_b32_e32 v5, v5, v6
	v_lshrrev_b32_e32 v3, 2, v3
	v_add_u32_e32 v3, v3, v5
	v_mov_b32_e32 v5, 0x7c00
	v_cmp_gt_i32_e32 vcc, 31, v4
	v_cndmask_b32_e32 v3, v5, v3, vcc
	v_mov_b32_e32 v6, 0x7e00
	v_cmp_ne_u32_e32 vcc, 0, v2
	s_movk_i32 s0, 0x40f
	v_cndmask_b32_e32 v2, v5, v6, vcc
	v_cmp_eq_u32_e32 vcc, s0, v4
	v_cndmask_b32_e32 v2, v3, v2, vcc
	v_lshrrev_b32_e32 v3, 16, v9
	s_mov_b32 s0, 0x8000
	v_and_or_b32 v2, v3, s0, v2
	global_store_short v[0:1], v2, off
.LBB9_2135:
	s_mov_b64 s[0:1], 0
.LBB9_2136:
	s_andn2_b64 vcc, exec, s[0:1]
	s_cbranch_vccnz .LBB9_2152
; %bb.2137:
	s_cmp_lt_i32 s4, 2
	s_mov_b64 s[0:1], -1
	s_cbranch_scc1 .LBB9_2147
; %bb.2138:
	s_cmp_lt_i32 s4, 3
	s_cbranch_scc1 .LBB9_2144
; %bb.2139:
	s_cmp_gt_i32 s4, 3
	s_cbranch_scc0 .LBB9_2141
; %bb.2140:
	v_trunc_f64_e32 v[2:3], v[8:9]
	s_movk_i32 s0, 0xffe0
	v_ldexp_f64 v[4:5], v[2:3], s0
	s_mov_b32 s0, 0
	s_mov_b32 s1, 0xc1f00000
	v_floor_f64_e32 v[4:5], v[4:5]
	v_fma_f64 v[2:3], v[4:5], s[0:1], v[2:3]
	v_cvt_i32_f64_e32 v4, v[4:5]
	s_mov_b64 s[0:1], 0
	v_cvt_u32_f64_e32 v3, v[2:3]
	global_store_dwordx2 v[0:1], v[3:4], off
.LBB9_2141:
	s_andn2_b64 vcc, exec, s[0:1]
	s_cbranch_vccnz .LBB9_2143
; %bb.2142:
	v_cvt_i32_f64_e32 v2, v[8:9]
	global_store_dword v[0:1], v2, off
.LBB9_2143:
	s_mov_b64 s[0:1], 0
.LBB9_2144:
	s_andn2_b64 vcc, exec, s[0:1]
	s_cbranch_vccnz .LBB9_2146
; %bb.2145:
	v_cvt_i32_f64_e32 v2, v[8:9]
	global_store_short v[0:1], v2, off
.LBB9_2146:
	s_mov_b64 s[0:1], 0
.LBB9_2147:
	s_andn2_b64 vcc, exec, s[0:1]
	s_cbranch_vccnz .LBB9_2152
; %bb.2148:
	s_cmp_gt_i32 s4, 0
	s_mov_b64 s[0:1], -1
	s_cbranch_scc0 .LBB9_2150
; %bb.2149:
	v_cvt_i32_f64_e32 v2, v[8:9]
	s_mov_b64 s[0:1], 0
	global_store_byte v[0:1], v2, off
.LBB9_2150:
	s_andn2_b64 vcc, exec, s[0:1]
	s_cbranch_vccnz .LBB9_2152
; %bb.2151:
	v_trunc_f64_e32 v[2:3], v[8:9]
	s_movk_i32 s0, 0xffe0
	v_ldexp_f64 v[4:5], v[2:3], s0
	s_mov_b32 s0, 0
	s_mov_b32 s1, 0xc1f00000
	v_floor_f64_e32 v[4:5], v[4:5]
	v_fma_f64 v[2:3], v[4:5], s[0:1], v[2:3]
	v_cvt_u32_f64_e32 v2, v[2:3]
	global_store_byte v[0:1], v2, off
.LBB9_2152:
	s_mov_b64 s[6:7], -1
.LBB9_2153:
	s_andn2_b64 vcc, exec, s[6:7]
	s_cbranch_vccnz .LBB9_2230
; %bb.2154:
	v_mov_b32_e32 v1, s9
	v_add_co_u32_e32 v0, vcc, s8, v14
	s_cmp_lt_i32 s14, 11
	v_addc_co_u32_e32 v1, vcc, 0, v1, vcc
	s_cbranch_scc1 .LBB9_2231
; %bb.2155:
	s_and_b32 s12, 0xffff, s14
	s_mov_b64 s[6:7], -1
	s_mov_b64 s[4:5], 0
	s_cmp_gt_i32 s12, 25
	s_mov_b64 s[0:1], 0
	s_cbranch_scc0 .LBB9_2188
; %bb.2156:
	s_cmp_gt_i32 s12, 28
	s_cbranch_scc0 .LBB9_2172
; %bb.2157:
	s_cmp_gt_i32 s12, 43
	;; [unrolled: 3-line block ×3, first 2 shown]
	s_cbranch_scc0 .LBB9_2162
; %bb.2159:
	s_cmp_eq_u32 s12, 46
	s_mov_b64 s[0:1], -1
	s_cbranch_scc0 .LBB9_2161
; %bb.2160:
	v_cvt_f32_f64_e32 v2, v[12:13]
	s_movk_i32 s0, 0x7fff
	v_mov_b32_e32 v3, 0x7fc0
	v_bfe_u32 v4, v2, 16, 1
	v_cmp_o_f32_e32 vcc, v2, v2
	v_add3_u32 v2, v2, v4, s0
	v_cndmask_b32_sdwa v2, v3, v2, vcc dst_sel:DWORD dst_unused:UNUSED_PAD src0_sel:DWORD src1_sel:WORD_1
	global_store_dword v[0:1], v2, off
	s_mov_b64 s[0:1], 0
.LBB9_2161:
	s_mov_b64 s[6:7], 0
.LBB9_2162:
	s_and_b64 vcc, exec, s[6:7]
	s_cbranch_vccz .LBB9_2167
; %bb.2163:
	s_cmp_eq_u32 s12, 44
	s_mov_b64 s[0:1], -1
	s_cbranch_scc0 .LBB9_2167
; %bb.2164:
	v_cvt_f32_f64_e32 v2, v[12:13]
	s_movk_i32 s0, 0xff
	v_mov_b32_e32 v4, 0xff
	v_bfe_u32 v3, v2, 23, 8
	v_cmp_ne_u32_e32 vcc, s0, v3
	s_and_saveexec_b64 s[6:7], vcc
; %bb.2165:
	s_mov_b32 s0, 0x3fffff
	v_lshrrev_b32_e32 v4, 23, v2
	v_and_b32_e32 v5, 0x400000, v2
	v_and_or_b32 v2, v2, s0, v3
	v_cmp_ne_u32_e32 vcc, 0, v5
	v_cmp_ne_u32_e64 s[0:1], 0, v2
	s_and_b64 s[0:1], vcc, s[0:1]
	v_cndmask_b32_e64 v2, 0, 1, s[0:1]
	v_add_u32_e32 v4, v4, v2
; %bb.2166:
	s_or_b64 exec, exec, s[6:7]
	s_mov_b64 s[0:1], 0
	global_store_byte v[0:1], v4, off
.LBB9_2167:
	s_mov_b64 s[6:7], 0
.LBB9_2168:
	s_and_b64 vcc, exec, s[6:7]
	s_cbranch_vccz .LBB9_2171
; %bb.2169:
	s_cmp_eq_u32 s12, 29
	s_mov_b64 s[0:1], -1
	s_cbranch_scc0 .LBB9_2171
; %bb.2170:
	v_trunc_f64_e32 v[2:3], v[12:13]
	s_movk_i32 s0, 0xffe0
	v_ldexp_f64 v[4:5], v[2:3], s0
	s_mov_b32 s0, 0
	s_mov_b32 s1, 0xc1f00000
	v_floor_f64_e32 v[4:5], v[4:5]
	v_fma_f64 v[2:3], v[4:5], s[0:1], v[2:3]
	v_cvt_u32_f64_e32 v4, v[4:5]
	s_mov_b64 s[0:1], 0
	v_cvt_u32_f64_e32 v3, v[2:3]
	global_store_dwordx2 v[0:1], v[3:4], off
.LBB9_2171:
	s_mov_b64 s[6:7], 0
.LBB9_2172:
	s_and_b64 vcc, exec, s[6:7]
	s_cbranch_vccz .LBB9_2187
; %bb.2173:
	s_cmp_lt_i32 s12, 27
	s_mov_b64 s[6:7], -1
	s_cbranch_scc1 .LBB9_2179
; %bb.2174:
	s_cmp_gt_i32 s12, 27
	s_cbranch_scc0 .LBB9_2176
; %bb.2175:
	v_cvt_u32_f64_e32 v2, v[12:13]
	s_mov_b64 s[6:7], 0
	global_store_dword v[0:1], v2, off
.LBB9_2176:
	s_andn2_b64 vcc, exec, s[6:7]
	s_cbranch_vccnz .LBB9_2178
; %bb.2177:
	v_cvt_u32_f64_e32 v2, v[12:13]
	global_store_short v[0:1], v2, off
.LBB9_2178:
	s_mov_b64 s[6:7], 0
.LBB9_2179:
	s_andn2_b64 vcc, exec, s[6:7]
	s_cbranch_vccnz .LBB9_2187
; %bb.2180:
	v_cvt_f32_f64_e32 v2, v[12:13]
	s_mov_b32 s6, 0x43800000
	v_mov_b32_e32 v4, 0x80
	v_and_b32_e32 v3, 0x7fffffff, v2
	v_cmp_gt_u32_e32 vcc, s6, v3
	s_and_saveexec_b64 s[6:7], vcc
	s_cbranch_execz .LBB9_2186
; %bb.2181:
	s_mov_b32 s8, 0x3bffffff
	v_cmp_lt_u32_e32 vcc, s8, v3
	s_mov_b64 s[8:9], 0
                                        ; implicit-def: $vgpr3
	s_and_saveexec_b64 s[10:11], vcc
	s_xor_b64 s[10:11], exec, s[10:11]
	s_cbranch_execz .LBB9_2248
; %bb.2182:
	v_bfe_u32 v3, v2, 20, 1
	s_mov_b32 s13, 0x487ffff
	v_add3_u32 v3, v2, v3, s13
	s_mov_b64 s[8:9], exec
	v_lshrrev_b32_e32 v3, 20, v3
	s_andn2_saveexec_b64 s[10:11], s[10:11]
	s_cbranch_execnz .LBB9_2249
.LBB9_2183:
	s_or_b64 exec, exec, s[10:11]
	v_mov_b32_e32 v4, 0
	s_and_saveexec_b64 s[10:11], s[8:9]
.LBB9_2184:
	v_lshrrev_b32_e32 v2, 24, v2
	s_movk_i32 s8, 0x80
	v_and_or_b32 v4, v2, s8, v3
.LBB9_2185:
	s_or_b64 exec, exec, s[10:11]
.LBB9_2186:
	s_or_b64 exec, exec, s[6:7]
	global_store_byte v[0:1], v4, off
.LBB9_2187:
	s_mov_b64 s[6:7], 0
.LBB9_2188:
	s_and_b64 vcc, exec, s[6:7]
	s_cbranch_vccz .LBB9_2228
; %bb.2189:
	s_cmp_gt_i32 s12, 22
	s_mov_b64 s[4:5], -1
	s_cbranch_scc0 .LBB9_2221
; %bb.2190:
	s_cmp_lt_i32 s12, 24
	s_cbranch_scc1 .LBB9_2210
; %bb.2191:
	s_cmp_gt_i32 s12, 24
	s_cbranch_scc0 .LBB9_2199
; %bb.2192:
	v_cvt_f32_f64_e32 v2, v[12:13]
	s_mov_b32 s4, 0x47800000
	v_mov_b32_e32 v4, 0x80
	v_and_b32_e32 v3, 0x7fffffff, v2
	v_cmp_gt_u32_e32 vcc, s4, v3
	s_and_saveexec_b64 s[4:5], vcc
	s_cbranch_execz .LBB9_2198
; %bb.2193:
	s_mov_b32 s6, 0x37ffffff
	v_cmp_lt_u32_e32 vcc, s6, v3
	s_mov_b64 s[6:7], 0
                                        ; implicit-def: $vgpr3
	s_and_saveexec_b64 s[8:9], vcc
	s_xor_b64 s[8:9], exec, s[8:9]
	s_cbranch_execz .LBB9_2251
; %bb.2194:
	v_bfe_u32 v3, v2, 21, 1
	s_mov_b32 s10, 0x88fffff
	v_add3_u32 v3, v2, v3, s10
	s_mov_b64 s[6:7], exec
	v_lshrrev_b32_e32 v3, 21, v3
	s_andn2_saveexec_b64 s[8:9], s[8:9]
	s_cbranch_execnz .LBB9_2252
.LBB9_2195:
	s_or_b64 exec, exec, s[8:9]
	v_mov_b32_e32 v4, 0
	s_and_saveexec_b64 s[8:9], s[6:7]
.LBB9_2196:
	v_lshrrev_b32_e32 v2, 24, v2
	s_movk_i32 s6, 0x80
	v_and_or_b32 v4, v2, s6, v3
.LBB9_2197:
	s_or_b64 exec, exec, s[8:9]
.LBB9_2198:
	s_or_b64 exec, exec, s[4:5]
	s_mov_b64 s[4:5], 0
	global_store_byte v[0:1], v4, off
.LBB9_2199:
	s_and_b64 vcc, exec, s[4:5]
	s_cbranch_vccz .LBB9_2209
; %bb.2200:
	v_cvt_f32_f64_e32 v2, v[12:13]
	s_mov_b32 s4, 0x43f00000
                                        ; implicit-def: $vgpr3
	v_and_b32_e32 v4, 0x7fffffff, v2
	v_cmp_gt_u32_e32 vcc, s4, v4
	s_and_saveexec_b64 s[4:5], vcc
	s_xor_b64 s[4:5], exec, s[4:5]
	s_cbranch_execz .LBB9_2206
; %bb.2201:
	s_mov_b32 s6, 0x3c7fffff
	v_cmp_lt_u32_e32 vcc, s6, v4
                                        ; implicit-def: $vgpr3
	s_and_saveexec_b64 s[6:7], vcc
	s_xor_b64 s[6:7], exec, s[6:7]
; %bb.2202:
	v_bfe_u32 v3, v2, 20, 1
	s_mov_b32 s8, 0x407ffff
	v_add3_u32 v3, v2, v3, s8
	v_lshrrev_b32_e32 v4, 20, v3
	v_and_b32_e32 v3, 0xff00000, v3
	s_mov_b32 s8, 0x7f00000
	v_mov_b32_e32 v5, 0x7e
	v_cmp_ne_u32_e32 vcc, s8, v3
	v_cndmask_b32_e32 v3, v5, v4, vcc
; %bb.2203:
	s_andn2_saveexec_b64 s[6:7], s[6:7]
; %bb.2204:
	s_mov_b32 s8, 0x46800000
	v_add_f32_e64 v3, |v2|, s8
; %bb.2205:
	s_or_b64 exec, exec, s[6:7]
                                        ; implicit-def: $vgpr4
.LBB9_2206:
	s_andn2_saveexec_b64 s[4:5], s[4:5]
; %bb.2207:
	s_mov_b32 s6, 0x7f800000
	v_mov_b32_e32 v3, 0x7e
	v_mov_b32_e32 v5, 0x7f
	v_cmp_lt_u32_e32 vcc, s6, v4
	v_cndmask_b32_e32 v3, v3, v5, vcc
; %bb.2208:
	s_or_b64 exec, exec, s[4:5]
	v_lshrrev_b32_e32 v2, 24, v2
	s_movk_i32 s4, 0x80
	v_and_or_b32 v2, v2, s4, v3
	global_store_byte v[0:1], v2, off
.LBB9_2209:
	s_mov_b64 s[4:5], 0
.LBB9_2210:
	s_andn2_b64 vcc, exec, s[4:5]
	s_cbranch_vccnz .LBB9_2220
; %bb.2211:
	v_cvt_f32_f64_e32 v2, v[12:13]
	s_mov_b32 s4, 0x47800000
                                        ; implicit-def: $vgpr3
	v_and_b32_e32 v4, 0x7fffffff, v2
	v_cmp_gt_u32_e32 vcc, s4, v4
	s_and_saveexec_b64 s[4:5], vcc
	s_xor_b64 s[4:5], exec, s[4:5]
	s_cbranch_execz .LBB9_2217
; %bb.2212:
	s_mov_b32 s6, 0x387fffff
	v_cmp_lt_u32_e32 vcc, s6, v4
                                        ; implicit-def: $vgpr3
	s_and_saveexec_b64 s[6:7], vcc
	s_xor_b64 s[6:7], exec, s[6:7]
; %bb.2213:
	v_bfe_u32 v3, v2, 21, 1
	s_mov_b32 s8, 0x80fffff
	v_add3_u32 v3, v2, v3, s8
	v_lshrrev_b32_e32 v3, 21, v3
; %bb.2214:
	s_andn2_saveexec_b64 s[6:7], s[6:7]
; %bb.2215:
	s_mov_b32 s8, 0x43000000
	v_add_f32_e64 v3, |v2|, s8
; %bb.2216:
	s_or_b64 exec, exec, s[6:7]
                                        ; implicit-def: $vgpr4
.LBB9_2217:
	s_andn2_saveexec_b64 s[4:5], s[4:5]
; %bb.2218:
	s_mov_b32 s6, 0x7f800000
	v_mov_b32_e32 v3, 0x7c
	v_mov_b32_e32 v5, 0x7f
	v_cmp_lt_u32_e32 vcc, s6, v4
	v_cndmask_b32_e32 v3, v3, v5, vcc
; %bb.2219:
	s_or_b64 exec, exec, s[4:5]
	v_lshrrev_b32_e32 v2, 24, v2
	s_movk_i32 s4, 0x80
	v_and_or_b32 v2, v2, s4, v3
	global_store_byte v[0:1], v2, off
.LBB9_2220:
	s_mov_b64 s[4:5], 0
.LBB9_2221:
	s_andn2_b64 vcc, exec, s[4:5]
	s_mov_b64 s[4:5], 0
	s_cbranch_vccnz .LBB9_2228
; %bb.2222:
	s_cmp_gt_i32 s12, 14
	s_mov_b64 s[6:7], -1
	s_cbranch_scc0 .LBB9_2226
; %bb.2223:
	s_cmp_eq_u32 s12, 15
	s_mov_b64 s[0:1], -1
	s_cbranch_scc0 .LBB9_2225
; %bb.2224:
	v_cvt_f32_f64_e32 v2, v[12:13]
	s_movk_i32 s0, 0x7fff
	v_mov_b32_e32 v3, 0x7fc0
	v_bfe_u32 v4, v2, 16, 1
	v_cmp_o_f32_e32 vcc, v2, v2
	v_add3_u32 v2, v2, v4, s0
	v_cndmask_b32_sdwa v2, v3, v2, vcc dst_sel:DWORD dst_unused:UNUSED_PAD src0_sel:DWORD src1_sel:WORD_1
	global_store_short v[0:1], v2, off
	s_mov_b64 s[0:1], 0
.LBB9_2225:
	s_mov_b64 s[6:7], 0
.LBB9_2226:
	s_and_b64 vcc, exec, s[6:7]
	s_cbranch_vccz .LBB9_2228
; %bb.2227:
	s_cmp_lg_u32 s12, 11
	s_mov_b64 s[4:5], -1
	s_cselect_b64 s[0:1], -1, 0
.LBB9_2228:
	s_and_b64 vcc, exec, s[0:1]
	s_cbranch_vccnz .LBB9_2250
.LBB9_2229:
	s_mov_b64 s[0:1], 0
	s_branch .LBB9_1831
.LBB9_2230:
	s_mov_b64 s[0:1], 0
                                        ; implicit-def: $vgpr0_vgpr1
                                        ; implicit-def: $sgpr14
	s_branch .LBB9_1830
.LBB9_2231:
	s_mov_b64 s[4:5], 0
	s_mov_b64 s[0:1], -1
	s_branch .LBB9_1831
.LBB9_2232:
	s_trap 2
	s_or_b64 s[2:3], s[2:3], exec
	s_cbranch_execz .LBB9_1687
	s_branch .LBB9_1688
.LBB9_2233:
	s_andn2_saveexec_b64 s[12:13], s[12:13]
	s_cbranch_execz .LBB9_1779
.LBB9_2234:
	s_mov_b32 s17, 0x46000000
	v_add_f32_e64 v3, |v2|, s17
	v_and_b32_e32 v3, 0xff, v3
	v_cmp_ne_u32_e32 vcc, 0, v3
	s_andn2_b64 s[10:11], s[10:11], exec
	s_and_b64 s[18:19], vcc, exec
	s_or_b64 s[10:11], s[10:11], s[18:19]
	s_or_b64 exec, exec, s[12:13]
	v_mov_b32_e32 v7, 0
	s_and_saveexec_b64 s[12:13], s[10:11]
	s_cbranch_execnz .LBB9_1780
	s_branch .LBB9_1781
.LBB9_2235:
	s_trap 2
	s_or_b64 s[2:3], s[2:3], exec
	s_cbranch_execz .LBB9_1827
	s_branch .LBB9_1828
.LBB9_2236:
	s_andn2_saveexec_b64 s[10:11], s[10:11]
	s_cbranch_execz .LBB9_1792
.LBB9_2237:
	s_mov_b32 s12, 0x42800000
	v_add_f32_e64 v3, |v2|, s12
	v_and_b32_e32 v3, 0xff, v3
	v_cmp_ne_u32_e32 vcc, 0, v3
	s_andn2_b64 s[6:7], s[6:7], exec
	s_and_b64 s[12:13], vcc, exec
	s_or_b64 s[6:7], s[6:7], s[12:13]
	s_or_b64 exec, exec, s[10:11]
	v_mov_b32_e32 v7, 0
	s_and_saveexec_b64 s[10:11], s[6:7]
	s_cbranch_execnz .LBB9_1793
	s_branch .LBB9_1794
.LBB9_2238:
	s_andn2_saveexec_b64 s[12:13], s[12:13]
	s_cbranch_execz .LBB9_1944
.LBB9_2239:
	s_mov_b32 s16, 0x46000000
	v_add_f32_e64 v3, |v2|, s16
	v_and_b32_e32 v3, 0xff, v3
	v_cmp_ne_u32_e32 vcc, 0, v3
	s_andn2_b64 s[10:11], s[10:11], exec
	s_and_b64 s[16:17], vcc, exec
	s_or_b64 s[10:11], s[10:11], s[16:17]
	s_or_b64 exec, exec, s[12:13]
	v_mov_b32_e32 v6, 0
	s_and_saveexec_b64 s[12:13], s[10:11]
	s_cbranch_execnz .LBB9_1945
	s_branch .LBB9_1946
.LBB9_2240:
	s_trap 2
	s_or_b64 s[2:3], s[2:3], exec
	s_cbranch_execz .LBB9_1992
	s_branch .LBB9_1993
.LBB9_2241:
	s_andn2_saveexec_b64 s[10:11], s[10:11]
	s_cbranch_execz .LBB9_1957
.LBB9_2242:
	s_mov_b32 s12, 0x42800000
	v_add_f32_e64 v3, |v2|, s12
	v_and_b32_e32 v3, 0xff, v3
	v_cmp_ne_u32_e32 vcc, 0, v3
	s_andn2_b64 s[6:7], s[6:7], exec
	s_and_b64 s[12:13], vcc, exec
	s_or_b64 s[6:7], s[6:7], s[12:13]
	s_or_b64 exec, exec, s[10:11]
	v_mov_b32_e32 v6, 0
	s_and_saveexec_b64 s[10:11], s[6:7]
	s_cbranch_execnz .LBB9_1958
	s_branch .LBB9_1959
.LBB9_2243:
	s_andn2_saveexec_b64 s[12:13], s[12:13]
	s_cbranch_execz .LBB9_2063
.LBB9_2244:
	s_mov_b32 s16, 0x46000000
	v_add_f32_e64 v3, |v2|, s16
	v_and_b32_e32 v3, 0xff, v3
	v_cmp_ne_u32_e32 vcc, 0, v3
	s_andn2_b64 s[10:11], s[10:11], exec
	s_and_b64 s[16:17], vcc, exec
	s_or_b64 s[10:11], s[10:11], s[16:17]
	s_or_b64 exec, exec, s[12:13]
	v_mov_b32_e32 v4, 0
	s_and_saveexec_b64 s[12:13], s[10:11]
	s_cbranch_execnz .LBB9_2064
	s_branch .LBB9_2065
.LBB9_2245:
	s_trap 2
	s_or_b64 s[2:3], s[2:3], exec
	s_cbranch_execz .LBB9_2111
	s_branch .LBB9_2112
.LBB9_2246:
	s_andn2_saveexec_b64 s[10:11], s[10:11]
	s_cbranch_execz .LBB9_2076
.LBB9_2247:
	s_mov_b32 s12, 0x42800000
	v_add_f32_e64 v3, |v2|, s12
	v_and_b32_e32 v3, 0xff, v3
	v_cmp_ne_u32_e32 vcc, 0, v3
	s_andn2_b64 s[6:7], s[6:7], exec
	s_and_b64 s[12:13], vcc, exec
	s_or_b64 s[6:7], s[6:7], s[12:13]
	s_or_b64 exec, exec, s[10:11]
	v_mov_b32_e32 v4, 0
	s_and_saveexec_b64 s[10:11], s[6:7]
	s_cbranch_execnz .LBB9_2077
	s_branch .LBB9_2078
.LBB9_2248:
	s_andn2_saveexec_b64 s[10:11], s[10:11]
	s_cbranch_execz .LBB9_2183
.LBB9_2249:
	s_mov_b32 s13, 0x46000000
	v_add_f32_e64 v3, |v2|, s13
	v_and_b32_e32 v3, 0xff, v3
	v_cmp_ne_u32_e32 vcc, 0, v3
	s_andn2_b64 s[8:9], s[8:9], exec
	s_and_b64 s[16:17], vcc, exec
	s_or_b64 s[8:9], s[8:9], s[16:17]
	s_or_b64 exec, exec, s[10:11]
	v_mov_b32_e32 v4, 0
	s_and_saveexec_b64 s[10:11], s[8:9]
	s_cbranch_execnz .LBB9_2184
	s_branch .LBB9_2185
.LBB9_2250:
	s_mov_b64 s[4:5], 0
	s_or_b64 s[2:3], s[2:3], exec
	s_trap 2
	s_branch .LBB9_2229
.LBB9_2251:
	s_andn2_saveexec_b64 s[8:9], s[8:9]
	s_cbranch_execz .LBB9_2195
.LBB9_2252:
	s_mov_b32 s10, 0x42800000
	v_add_f32_e64 v3, |v2|, s10
	v_and_b32_e32 v3, 0xff, v3
	v_cmp_ne_u32_e32 vcc, 0, v3
	s_andn2_b64 s[6:7], s[6:7], exec
	s_and_b64 s[10:11], vcc, exec
	s_or_b64 s[6:7], s[6:7], s[10:11]
	s_or_b64 exec, exec, s[8:9]
	v_mov_b32_e32 v4, 0
	s_and_saveexec_b64 s[8:9], s[6:7]
	s_cbranch_execnz .LBB9_2196
	s_branch .LBB9_2197
	.section	.rodata,"a",@progbits
	.p2align	6, 0x0
	.amdhsa_kernel _ZN2at6native32elementwise_kernel_manual_unrollILi128ELi4EZNS0_15gpu_kernel_implIZZZNS0_12_GLOBAL__N_130modified_bessel_i1_kernel_cudaERNS_18TensorIteratorBaseEENKUlvE_clEvENKUlvE_clEvEUldE_EEvS5_RKT_EUlibE0_EEviT1_
		.amdhsa_group_segment_fixed_size 0
		.amdhsa_private_segment_fixed_size 0
		.amdhsa_kernarg_size 360
		.amdhsa_user_sgpr_count 6
		.amdhsa_user_sgpr_private_segment_buffer 1
		.amdhsa_user_sgpr_dispatch_ptr 0
		.amdhsa_user_sgpr_queue_ptr 0
		.amdhsa_user_sgpr_kernarg_segment_ptr 1
		.amdhsa_user_sgpr_dispatch_id 0
		.amdhsa_user_sgpr_flat_scratch_init 0
		.amdhsa_user_sgpr_private_segment_size 0
		.amdhsa_uses_dynamic_stack 0
		.amdhsa_system_sgpr_private_segment_wavefront_offset 0
		.amdhsa_system_sgpr_workgroup_id_x 1
		.amdhsa_system_sgpr_workgroup_id_y 0
		.amdhsa_system_sgpr_workgroup_id_z 0
		.amdhsa_system_sgpr_workgroup_info 0
		.amdhsa_system_vgpr_workitem_id 0
		.amdhsa_next_free_vgpr 27
		.amdhsa_next_free_sgpr 78
		.amdhsa_reserve_vcc 1
		.amdhsa_reserve_flat_scratch 0
		.amdhsa_float_round_mode_32 0
		.amdhsa_float_round_mode_16_64 0
		.amdhsa_float_denorm_mode_32 3
		.amdhsa_float_denorm_mode_16_64 3
		.amdhsa_dx10_clamp 1
		.amdhsa_ieee_mode 1
		.amdhsa_fp16_overflow 0
		.amdhsa_exception_fp_ieee_invalid_op 0
		.amdhsa_exception_fp_denorm_src 0
		.amdhsa_exception_fp_ieee_div_zero 0
		.amdhsa_exception_fp_ieee_overflow 0
		.amdhsa_exception_fp_ieee_underflow 0
		.amdhsa_exception_fp_ieee_inexact 0
		.amdhsa_exception_int_div_zero 0
	.end_amdhsa_kernel
	.section	.text._ZN2at6native32elementwise_kernel_manual_unrollILi128ELi4EZNS0_15gpu_kernel_implIZZZNS0_12_GLOBAL__N_130modified_bessel_i1_kernel_cudaERNS_18TensorIteratorBaseEENKUlvE_clEvENKUlvE_clEvEUldE_EEvS5_RKT_EUlibE0_EEviT1_,"axG",@progbits,_ZN2at6native32elementwise_kernel_manual_unrollILi128ELi4EZNS0_15gpu_kernel_implIZZZNS0_12_GLOBAL__N_130modified_bessel_i1_kernel_cudaERNS_18TensorIteratorBaseEENKUlvE_clEvENKUlvE_clEvEUldE_EEvS5_RKT_EUlibE0_EEviT1_,comdat
.Lfunc_end9:
	.size	_ZN2at6native32elementwise_kernel_manual_unrollILi128ELi4EZNS0_15gpu_kernel_implIZZZNS0_12_GLOBAL__N_130modified_bessel_i1_kernel_cudaERNS_18TensorIteratorBaseEENKUlvE_clEvENKUlvE_clEvEUldE_EEvS5_RKT_EUlibE0_EEviT1_, .Lfunc_end9-_ZN2at6native32elementwise_kernel_manual_unrollILi128ELi4EZNS0_15gpu_kernel_implIZZZNS0_12_GLOBAL__N_130modified_bessel_i1_kernel_cudaERNS_18TensorIteratorBaseEENKUlvE_clEvENKUlvE_clEvEUldE_EEvS5_RKT_EUlibE0_EEviT1_
                                        ; -- End function
	.set _ZN2at6native32elementwise_kernel_manual_unrollILi128ELi4EZNS0_15gpu_kernel_implIZZZNS0_12_GLOBAL__N_130modified_bessel_i1_kernel_cudaERNS_18TensorIteratorBaseEENKUlvE_clEvENKUlvE_clEvEUldE_EEvS5_RKT_EUlibE0_EEviT1_.num_vgpr, 27
	.set _ZN2at6native32elementwise_kernel_manual_unrollILi128ELi4EZNS0_15gpu_kernel_implIZZZNS0_12_GLOBAL__N_130modified_bessel_i1_kernel_cudaERNS_18TensorIteratorBaseEENKUlvE_clEvENKUlvE_clEvEUldE_EEvS5_RKT_EUlibE0_EEviT1_.num_agpr, 0
	.set _ZN2at6native32elementwise_kernel_manual_unrollILi128ELi4EZNS0_15gpu_kernel_implIZZZNS0_12_GLOBAL__N_130modified_bessel_i1_kernel_cudaERNS_18TensorIteratorBaseEENKUlvE_clEvENKUlvE_clEvEUldE_EEvS5_RKT_EUlibE0_EEviT1_.numbered_sgpr, 78
	.set _ZN2at6native32elementwise_kernel_manual_unrollILi128ELi4EZNS0_15gpu_kernel_implIZZZNS0_12_GLOBAL__N_130modified_bessel_i1_kernel_cudaERNS_18TensorIteratorBaseEENKUlvE_clEvENKUlvE_clEvEUldE_EEvS5_RKT_EUlibE0_EEviT1_.num_named_barrier, 0
	.set _ZN2at6native32elementwise_kernel_manual_unrollILi128ELi4EZNS0_15gpu_kernel_implIZZZNS0_12_GLOBAL__N_130modified_bessel_i1_kernel_cudaERNS_18TensorIteratorBaseEENKUlvE_clEvENKUlvE_clEvEUldE_EEvS5_RKT_EUlibE0_EEviT1_.private_seg_size, 0
	.set _ZN2at6native32elementwise_kernel_manual_unrollILi128ELi4EZNS0_15gpu_kernel_implIZZZNS0_12_GLOBAL__N_130modified_bessel_i1_kernel_cudaERNS_18TensorIteratorBaseEENKUlvE_clEvENKUlvE_clEvEUldE_EEvS5_RKT_EUlibE0_EEviT1_.uses_vcc, 1
	.set _ZN2at6native32elementwise_kernel_manual_unrollILi128ELi4EZNS0_15gpu_kernel_implIZZZNS0_12_GLOBAL__N_130modified_bessel_i1_kernel_cudaERNS_18TensorIteratorBaseEENKUlvE_clEvENKUlvE_clEvEUldE_EEvS5_RKT_EUlibE0_EEviT1_.uses_flat_scratch, 0
	.set _ZN2at6native32elementwise_kernel_manual_unrollILi128ELi4EZNS0_15gpu_kernel_implIZZZNS0_12_GLOBAL__N_130modified_bessel_i1_kernel_cudaERNS_18TensorIteratorBaseEENKUlvE_clEvENKUlvE_clEvEUldE_EEvS5_RKT_EUlibE0_EEviT1_.has_dyn_sized_stack, 0
	.set _ZN2at6native32elementwise_kernel_manual_unrollILi128ELi4EZNS0_15gpu_kernel_implIZZZNS0_12_GLOBAL__N_130modified_bessel_i1_kernel_cudaERNS_18TensorIteratorBaseEENKUlvE_clEvENKUlvE_clEvEUldE_EEvS5_RKT_EUlibE0_EEviT1_.has_recursion, 0
	.set _ZN2at6native32elementwise_kernel_manual_unrollILi128ELi4EZNS0_15gpu_kernel_implIZZZNS0_12_GLOBAL__N_130modified_bessel_i1_kernel_cudaERNS_18TensorIteratorBaseEENKUlvE_clEvENKUlvE_clEvEUldE_EEvS5_RKT_EUlibE0_EEviT1_.has_indirect_call, 0
	.section	.AMDGPU.csdata,"",@progbits
; Kernel info:
; codeLenInByte = 66848
; TotalNumSgprs: 82
; NumVgprs: 27
; ScratchSize: 0
; MemoryBound: 1
; FloatMode: 240
; IeeeMode: 1
; LDSByteSize: 0 bytes/workgroup (compile time only)
; SGPRBlocks: 10
; VGPRBlocks: 6
; NumSGPRsForWavesPerEU: 82
; NumVGPRsForWavesPerEU: 27
; Occupancy: 9
; WaveLimiterHint : 1
; COMPUTE_PGM_RSRC2:SCRATCH_EN: 0
; COMPUTE_PGM_RSRC2:USER_SGPR: 6
; COMPUTE_PGM_RSRC2:TRAP_HANDLER: 0
; COMPUTE_PGM_RSRC2:TGID_X_EN: 1
; COMPUTE_PGM_RSRC2:TGID_Y_EN: 0
; COMPUTE_PGM_RSRC2:TGID_Z_EN: 0
; COMPUTE_PGM_RSRC2:TIDIG_COMP_CNT: 0
	.text
	.p2align	2                               ; -- Begin function _ZN2at6native25elementwise_kernel_helperILb0EZZZNS0_12_GLOBAL__N_130modified_bessel_i1_kernel_cudaERNS_18TensorIteratorBaseEENKUlvE_clEvENKUlvE0_clEvEUlfE_NS0_6memory8policies11unroll_baseILi256ESt5arrayIPcLm2EE23TrivialOffsetCalculatorILi1EjESF_NS8_15LoadWithoutCastENS8_16StoreWithoutCastELi4ELi1EEEEEvT0_T1_
	.type	_ZN2at6native25elementwise_kernel_helperILb0EZZZNS0_12_GLOBAL__N_130modified_bessel_i1_kernel_cudaERNS_18TensorIteratorBaseEENKUlvE_clEvENKUlvE0_clEvEUlfE_NS0_6memory8policies11unroll_baseILi256ESt5arrayIPcLm2EE23TrivialOffsetCalculatorILi1EjESF_NS8_15LoadWithoutCastENS8_16StoreWithoutCastELi4ELi1EEEEEvT0_T1_,@function
_ZN2at6native25elementwise_kernel_helperILb0EZZZNS0_12_GLOBAL__N_130modified_bessel_i1_kernel_cudaERNS_18TensorIteratorBaseEENKUlvE_clEvENKUlvE0_clEvEUlfE_NS0_6memory8policies11unroll_baseILi256ESt5arrayIPcLm2EE23TrivialOffsetCalculatorILi1EjESF_NS8_15LoadWithoutCastENS8_16StoreWithoutCastELi4ELi1EEEEEvT0_T1_: ; @_ZN2at6native25elementwise_kernel_helperILb0EZZZNS0_12_GLOBAL__N_130modified_bessel_i1_kernel_cudaERNS_18TensorIteratorBaseEENKUlvE_clEvENKUlvE0_clEvEUlfE_NS0_6memory8policies11unroll_baseILi256ESt5arrayIPcLm2EE23TrivialOffsetCalculatorILi1EjESF_NS8_15LoadWithoutCastENS8_16StoreWithoutCastELi4ELi1EEEEEvT0_T1_
; %bb.0:
	s_waitcnt vmcnt(0) expcnt(0) lgkmcnt(0)
	v_and_b32_e32 v7, 0x3ff, v31
	s_lshl_b32 s14, s12, 10
	v_cmp_lt_i32_e64 s[4:5], v7, v4
	v_mov_b32_e32 v12, 0
	v_or_b32_e32 v5, s14, v7
	v_mov_b32_e32 v13, 0
	v_mov_b32_e32 v9, v7
	s_and_saveexec_b64 s[6:7], s[4:5]
	s_cbranch_execz .LBB10_2
; %bb.1:
	v_mov_b32_e32 v6, 0
	v_lshlrev_b64 v[8:9], 2, v[5:6]
	v_add_co_u32_e32 v8, vcc, v2, v8
	v_addc_co_u32_e32 v9, vcc, v3, v9, vcc
	flat_load_dword v13, v[8:9]
	v_add_u32_e32 v9, 0x100, v7
.LBB10_2:
	s_or_b64 exec, exec, s[6:7]
	v_cmp_lt_i32_e32 vcc, v9, v4
	s_and_saveexec_b64 s[6:7], vcc
	s_cbranch_execz .LBB10_4
; %bb.3:
	v_add_u32_e32 v10, s14, v9
	v_mov_b32_e32 v11, 0
	v_lshlrev_b64 v[10:11], 2, v[10:11]
	v_add_u32_e32 v9, 0x100, v9
	v_add_co_u32_e32 v10, vcc, v2, v10
	v_addc_co_u32_e32 v11, vcc, v3, v11, vcc
	flat_load_dword v12, v[10:11]
.LBB10_4:
	s_or_b64 exec, exec, s[6:7]
	v_cmp_lt_i32_e32 vcc, v9, v4
	v_mov_b32_e32 v6, 0
	v_mov_b32_e32 v8, 0
	s_and_saveexec_b64 s[6:7], vcc
	s_cbranch_execz .LBB10_6
; %bb.5:
	v_add_u32_e32 v10, s14, v9
	v_mov_b32_e32 v11, 0
	v_lshlrev_b64 v[10:11], 2, v[10:11]
	v_add_u32_e32 v9, 0x100, v9
	v_add_co_u32_e32 v10, vcc, v2, v10
	v_addc_co_u32_e32 v11, vcc, v3, v11, vcc
	flat_load_dword v8, v[10:11]
.LBB10_6:
	s_or_b64 exec, exec, s[6:7]
	v_cmp_lt_i32_e32 vcc, v9, v4
	s_and_saveexec_b64 s[6:7], vcc
	s_cbranch_execz .LBB10_8
; %bb.7:
	v_add_u32_e32 v9, s14, v9
	v_mov_b32_e32 v10, 0
	v_lshlrev_b64 v[9:10], 2, v[9:10]
	v_add_co_u32_e32 v2, vcc, v2, v9
	v_addc_co_u32_e32 v3, vcc, v3, v10, vcc
	flat_load_dword v6, v[2:3]
.LBB10_8:
	s_or_b64 exec, exec, s[6:7]
	v_mov_b32_e32 v2, 0
	v_mov_b32_e32 v11, v2
	;; [unrolled: 1-line block ×4, first 2 shown]
	s_and_saveexec_b64 s[8:9], s[4:5]
	s_cbranch_execz .LBB10_22
; %bb.9:
	s_mov_b32 s6, 0x41000000
	s_waitcnt vmcnt(0) lgkmcnt(0)
	v_cmp_le_f32_e64 s[6:7], |v13|, s6
                                        ; implicit-def: $vgpr2
	s_and_saveexec_b64 s[10:11], s[6:7]
	s_xor_b64 s[10:11], exec, s[10:11]
	s_cbranch_execz .LBB10_15
; %bb.10:
	v_fma_f32 v2, |v13|, 0.5, -2.0
	v_mov_b32_e32 v3, 0xa3c2be86
	v_fmac_f32_e32 v3, 0x224cf950, v2
	v_mov_b32_e32 v9, 0xa24cf950
	v_fmac_f32_e32 v9, v2, v3
	v_add_f32_e32 v9, 0x25331f1f, v9
	v_fma_f32 v3, v2, v9, -v3
	v_add_f32_e32 v3, 0xa69f5554, v3
	v_fma_f32 v9, v2, v3, -v9
	;; [unrolled: 2-line block ×25, first 2 shown]
	v_add_f32_e32 v3, 0xbe34a688, v3
	s_mov_b32 s6, 0x3fb8aa3b
	v_fma_f32 v2, v2, v3, -v9
	v_mul_f32_e64 v3, |v13|, s6
	v_rndne_f32_e32 v10, v3
	v_sub_f32_e32 v11, v3, v10
	v_fma_f32 v3, |v13|, s6, -v3
	s_mov_b32 s6, 0x32a5705f
	v_fma_f32 v3, |v13|, s6, v3
	v_add_f32_e32 v3, v11, v3
	v_exp_f32_e32 v11, v3
	v_cvt_i32_f32_e32 v10, v10
	v_add_f32_e32 v2, 0x3e81531c, v2
	v_sub_f32_e32 v2, v2, v9
	v_mul_f32_e32 v2, 0.5, v2
	s_mov_b32 s6, 0xc2ce8ed0
	v_mul_f32_e64 v3, |v13|, v2
	v_ldexp_f32 v2, v11, v10
	v_cmp_nlt_f32_e64 s[6:7], |v13|, s6
	v_cndmask_b32_e64 v2, 0, v2, s[6:7]
	s_mov_b32 s6, 0x42b17218
	v_mov_b32_e32 v9, 0x7f800000
	v_cmp_ngt_f32_e64 s[6:7], |v13|, s6
	v_cmp_ngt_f32_e32 vcc, 0, v13
	v_cndmask_b32_e64 v9, v9, v2, s[6:7]
                                        ; implicit-def: $vgpr2
	s_and_saveexec_b64 s[6:7], vcc
	s_xor_b64 s[6:7], exec, s[6:7]
; %bb.11:
	v_mul_f32_e32 v2, v9, v3
                                        ; implicit-def: $vgpr9
                                        ; implicit-def: $vgpr3
; %bb.12:
	s_andn2_saveexec_b64 s[6:7], s[6:7]
; %bb.13:
	v_mul_f32_e64 v2, v3, -v9
; %bb.14:
	s_or_b64 exec, exec, s[6:7]
                                        ; implicit-def: $vgpr13
.LBB10_15:
	s_andn2_saveexec_b64 s[10:11], s[10:11]
	s_cbranch_execz .LBB10_21
; %bb.16:
	v_and_b32_e32 v2, 0x7fffffff, v13
	s_mov_b32 s12, 0x42000000
	v_div_scale_f32 v3, s[6:7], v2, v2, s12
	v_div_scale_f32 v2, vcc, s12, v2, s12
	s_mov_b32 s13, 0x3fb8aa3b
	s_mov_b32 s15, 0x32a5705f
	v_mov_b32_e32 v9, 0x22a2dc57
	v_mov_b32_e32 v11, 0xa30aab6e
	v_cmp_ngt_f32_e64 s[6:7], 0, v13
	v_rcp_f32_e32 v10, v3
	v_fma_f32 v14, -v3, v10, 1.0
	v_fmac_f32_e32 v10, v14, v10
	v_mul_f32_e32 v14, v2, v10
	v_fma_f32 v15, -v3, v14, v2
	v_fmac_f32_e32 v14, v15, v10
	v_fma_f32 v2, -v3, v14, v2
	v_div_fmas_f32 v2, v2, v10, v14
	v_mul_f32_e64 v3, |v13|, s13
	v_rndne_f32_e32 v10, v3
	v_fma_f32 v14, |v13|, s13, -v3
	v_sub_f32_e32 v3, v3, v10
	v_fma_f32 v14, |v13|, s15, v14
	v_add_f32_e32 v3, v3, v14
	v_cvt_i32_f32_e32 v10, v10
	v_exp_f32_e32 v3, v3
	s_mov_b32 s13, 0xc2ce8ed0
	s_mov_b32 s15, 0x42b17218
	v_cmp_nlt_f32_e64 vcc, |v13|, s13
	v_ldexp_f32 v3, v3, v10
	v_mov_b32_e32 v14, 0x7f800000
	v_cndmask_b32_e32 v3, 0, v3, vcc
	v_cmp_ngt_f32_e64 vcc, |v13|, s15
	v_div_fixup_f32 v2, v2, |v13|, s12
	v_add_f32_e32 v2, -2.0, v2
	v_fmac_f32_e32 v9, 0x230aab6e, v2
	v_fmac_f32_e32 v11, v2, v9
	v_add_f32_e32 v10, 0xa456751e, v11
	v_fma_f32 v9, v2, v10, -v9
	v_add_f32_e32 v9, 0xa4140365, v9
	v_fma_f32 v10, v2, v9, -v10
	;; [unrolled: 2-line block ×22, first 2 shown]
	v_add_f32_e32 v2, 0x3f4750c6, v2
	v_cndmask_b32_e32 v3, v14, v3, vcc
	v_sub_f32_e32 v9, v2, v10
                                        ; implicit-def: $vgpr2
	s_and_saveexec_b64 s[12:13], s[6:7]
	s_xor_b64 s[12:13], exec, s[12:13]
	s_cbranch_execz .LBB10_18
; %bb.17:
	s_mov_b32 s6, 0xf800000
	s_mov_b32 s7, 0x4f800000
	v_mul_f32_e64 v2, |v13|, s7
	v_cmp_lt_f32_e64 vcc, |v13|, s6
	v_cndmask_b32_e64 v2, |v13|, v2, vcc
	v_sqrt_f32_e32 v10, v2
	v_mul_f32_e32 v9, 0.5, v9
	v_mul_f32_e32 v3, v3, v9
	v_add_u32_e32 v9, -1, v10
	v_fma_f32 v11, -v9, v10, v2
	v_cmp_ge_f32_e64 s[6:7], 0, v11
	v_add_u32_e32 v11, 1, v10
	v_cndmask_b32_e64 v9, v10, v9, s[6:7]
	v_fma_f32 v10, -v11, v10, v2
	v_cmp_lt_f32_e64 s[6:7], 0, v10
	v_cndmask_b32_e64 v9, v9, v11, s[6:7]
	v_mul_f32_e32 v10, 0x37800000, v9
	v_cndmask_b32_e32 v9, v9, v10, vcc
	v_mov_b32_e32 v10, 0x260
	v_cmp_class_f32_e32 vcc, v2, v10
	v_cndmask_b32_e32 v2, v9, v2, vcc
	v_div_scale_f32 v9, s[6:7], v2, v2, v3
	v_div_scale_f32 v10, vcc, v3, v2, v3
	v_rcp_f32_e32 v11, v9
	v_fma_f32 v13, -v9, v11, 1.0
	v_fmac_f32_e32 v11, v13, v11
	v_mul_f32_e32 v13, v10, v11
	v_fma_f32 v14, -v9, v13, v10
	v_fmac_f32_e32 v13, v14, v11
	v_fma_f32 v9, -v9, v13, v10
	v_div_fmas_f32 v9, v9, v11, v13
                                        ; implicit-def: $vgpr13
	v_div_fixup_f32 v2, v9, v2, v3
                                        ; implicit-def: $vgpr9
                                        ; implicit-def: $vgpr3
.LBB10_18:
	s_andn2_saveexec_b64 s[12:13], s[12:13]
	s_cbranch_execz .LBB10_20
; %bb.19:
	s_mov_b32 s6, 0xf800000
	s_mov_b32 s7, 0x4f800000
	v_mul_f32_e64 v2, |v13|, s7
	v_cmp_lt_f32_e64 vcc, |v13|, s6
	v_cndmask_b32_e64 v2, |v13|, v2, vcc
	v_sqrt_f32_e32 v10, v2
	v_mul_f32_e32 v9, -0.5, v9
	v_mul_f32_e32 v3, v3, v9
	v_add_u32_e32 v11, -1, v10
	v_fma_f32 v13, -v11, v10, v2
	v_cmp_ge_f32_e64 s[6:7], 0, v13
	v_add_u32_e32 v13, 1, v10
	v_cndmask_b32_e64 v11, v10, v11, s[6:7]
	v_fma_f32 v10, -v13, v10, v2
	v_cmp_lt_f32_e64 s[6:7], 0, v10
	v_cndmask_b32_e64 v10, v11, v13, s[6:7]
	v_mul_f32_e32 v11, 0x37800000, v10
	v_cndmask_b32_e32 v10, v10, v11, vcc
	v_mov_b32_e32 v11, 0x260
	v_cmp_class_f32_e32 vcc, v2, v11
	v_cndmask_b32_e32 v2, v10, v2, vcc
	v_div_scale_f32 v9, s[6:7], v2, v2, v3
	v_div_scale_f32 v10, vcc, v3, v2, v3
	v_rcp_f32_e32 v11, v9
	v_fma_f32 v13, -v9, v11, 1.0
	v_fmac_f32_e32 v11, v13, v11
	v_mul_f32_e32 v13, v10, v11
	v_fma_f32 v14, -v9, v13, v10
	v_fmac_f32_e32 v13, v14, v11
	v_fma_f32 v9, -v9, v13, v10
	v_div_fmas_f32 v9, v9, v11, v13
	v_div_fixup_f32 v2, v9, v2, v3
.LBB10_20:
	s_or_b64 exec, exec, s[12:13]
.LBB10_21:
	s_or_b64 exec, exec, s[10:11]
	v_mov_b32_e32 v11, 0
	v_mov_b32_e32 v10, v11
	;; [unrolled: 1-line block ×3, first 2 shown]
.LBB10_22:
	s_or_b64 exec, exec, s[8:9]
	v_add_u32_e32 v3, 0x100, v7
	v_cmp_lt_i32_e32 vcc, v3, v4
	s_and_saveexec_b64 s[8:9], vcc
	s_cbranch_execz .LBB10_36
; %bb.23:
	s_mov_b32 s6, 0x41000000
	s_waitcnt vmcnt(0) lgkmcnt(0)
	v_cmp_le_f32_e64 s[6:7], |v12|, s6
	s_and_saveexec_b64 s[10:11], s[6:7]
	s_xor_b64 s[10:11], exec, s[10:11]
                                        ; implicit-def: $vgpr11
	s_cbranch_execz .LBB10_29
; %bb.24:
	v_fma_f32 v11, |v12|, 0.5, -2.0
	v_mov_b32_e32 v13, 0xa3c2be86
	v_fmac_f32_e32 v13, 0x224cf950, v11
	v_mov_b32_e32 v14, 0xa24cf950
	v_fmac_f32_e32 v14, v11, v13
	v_add_f32_e32 v14, 0x25331f1f, v14
	v_fma_f32 v13, v11, v14, -v13
	v_add_f32_e32 v13, 0xa69f5554, v13
	v_fma_f32 v14, v11, v13, -v14
	;; [unrolled: 2-line block ×25, first 2 shown]
	v_add_f32_e32 v13, 0xbe34a688, v13
	s_mov_b32 s6, 0x3fb8aa3b
	v_fma_f32 v11, v11, v13, -v14
	v_mul_f32_e64 v13, |v12|, s6
	v_rndne_f32_e32 v15, v13
	v_sub_f32_e32 v16, v13, v15
	v_fma_f32 v13, |v12|, s6, -v13
	s_mov_b32 s6, 0x32a5705f
	v_fma_f32 v13, |v12|, s6, v13
	v_add_f32_e32 v13, v16, v13
	v_exp_f32_e32 v16, v13
	v_cvt_i32_f32_e32 v15, v15
	v_add_f32_e32 v11, 0x3e81531c, v11
	v_sub_f32_e32 v11, v11, v14
	v_mul_f32_e32 v11, 0.5, v11
	s_mov_b32 s6, 0xc2ce8ed0
	v_mul_f32_e64 v13, |v12|, v11
	v_ldexp_f32 v11, v16, v15
	v_cmp_nlt_f32_e64 s[6:7], |v12|, s6
	v_cndmask_b32_e64 v11, 0, v11, s[6:7]
	s_mov_b32 s6, 0x42b17218
	v_mov_b32_e32 v14, 0x7f800000
	v_cmp_ngt_f32_e64 s[6:7], |v12|, s6
	v_cmp_ngt_f32_e32 vcc, 0, v12
	v_cndmask_b32_e64 v12, v14, v11, s[6:7]
	s_and_saveexec_b64 s[6:7], vcc
	s_xor_b64 s[6:7], exec, s[6:7]
                                        ; implicit-def: $vgpr11
; %bb.25:
	v_mul_f32_e32 v11, v12, v13
                                        ; implicit-def: $vgpr12
                                        ; implicit-def: $vgpr13
; %bb.26:
	s_andn2_saveexec_b64 s[6:7], s[6:7]
; %bb.27:
	v_mul_f32_e64 v11, v13, -v12
; %bb.28:
	s_or_b64 exec, exec, s[6:7]
                                        ; implicit-def: $vgpr12
.LBB10_29:
	s_andn2_saveexec_b64 s[10:11], s[10:11]
	s_cbranch_execz .LBB10_35
; %bb.30:
	v_and_b32_e32 v11, 0x7fffffff, v12
	s_mov_b32 s12, 0x42000000
	v_div_scale_f32 v13, s[6:7], v11, v11, s12
	v_div_scale_f32 v11, vcc, s12, v11, s12
	s_mov_b32 s13, 0x3fb8aa3b
	s_mov_b32 s15, 0x32a5705f
	v_mov_b32_e32 v14, 0x22a2dc57
	v_mov_b32_e32 v16, 0xa30aab6e
	v_cmp_ngt_f32_e64 s[6:7], 0, v12
	v_rcp_f32_e32 v15, v13
	v_fma_f32 v17, -v13, v15, 1.0
	v_fmac_f32_e32 v15, v17, v15
	v_mul_f32_e32 v17, v11, v15
	v_fma_f32 v18, -v13, v17, v11
	v_fmac_f32_e32 v17, v18, v15
	v_fma_f32 v11, -v13, v17, v11
	v_div_fmas_f32 v11, v11, v15, v17
	v_mul_f32_e64 v13, |v12|, s13
	v_rndne_f32_e32 v15, v13
	v_fma_f32 v17, |v12|, s13, -v13
	v_sub_f32_e32 v13, v13, v15
	v_fma_f32 v17, |v12|, s15, v17
	v_add_f32_e32 v13, v13, v17
	v_cvt_i32_f32_e32 v15, v15
	v_exp_f32_e32 v13, v13
	s_mov_b32 s13, 0xc2ce8ed0
	s_mov_b32 s15, 0x42b17218
	v_cmp_nlt_f32_e64 vcc, |v12|, s13
	v_ldexp_f32 v13, v13, v15
	v_mov_b32_e32 v17, 0x7f800000
	v_cndmask_b32_e32 v13, 0, v13, vcc
	v_cmp_ngt_f32_e64 vcc, |v12|, s15
	v_div_fixup_f32 v11, v11, |v12|, s12
	v_add_f32_e32 v11, -2.0, v11
	v_fmac_f32_e32 v14, 0x230aab6e, v11
	v_fmac_f32_e32 v16, v11, v14
	v_add_f32_e32 v15, 0xa456751e, v16
	v_fma_f32 v14, v11, v15, -v14
	v_add_f32_e32 v14, 0xa4140365, v14
	v_fma_f32 v15, v11, v14, -v15
	;; [unrolled: 2-line block ×22, first 2 shown]
	v_add_f32_e32 v11, 0x3f4750c6, v11
	v_cndmask_b32_e32 v13, v17, v13, vcc
	v_sub_f32_e32 v14, v11, v15
	s_and_saveexec_b64 s[12:13], s[6:7]
	s_xor_b64 s[12:13], exec, s[12:13]
                                        ; implicit-def: $vgpr11
	s_cbranch_execz .LBB10_32
; %bb.31:
	s_mov_b32 s6, 0xf800000
	s_mov_b32 s7, 0x4f800000
	v_mul_f32_e64 v11, |v12|, s7
	v_cmp_lt_f32_e64 vcc, |v12|, s6
	v_cndmask_b32_e64 v11, |v12|, v11, vcc
	v_sqrt_f32_e32 v12, v11
	v_mul_f32_e32 v14, 0.5, v14
	v_mul_f32_e32 v13, v13, v14
	v_add_u32_e32 v14, -1, v12
	v_fma_f32 v15, -v14, v12, v11
	v_cmp_ge_f32_e64 s[6:7], 0, v15
	v_add_u32_e32 v15, 1, v12
	v_cndmask_b32_e64 v14, v12, v14, s[6:7]
	v_fma_f32 v12, -v15, v12, v11
	v_cmp_lt_f32_e64 s[6:7], 0, v12
	v_cndmask_b32_e64 v12, v14, v15, s[6:7]
	v_mul_f32_e32 v14, 0x37800000, v12
	v_cndmask_b32_e32 v12, v12, v14, vcc
	v_mov_b32_e32 v14, 0x260
	v_cmp_class_f32_e32 vcc, v11, v14
	v_cndmask_b32_e32 v11, v12, v11, vcc
	v_div_scale_f32 v12, s[6:7], v11, v11, v13
	v_div_scale_f32 v14, vcc, v13, v11, v13
	v_rcp_f32_e32 v15, v12
	v_fma_f32 v16, -v12, v15, 1.0
	v_fmac_f32_e32 v15, v16, v15
	v_mul_f32_e32 v16, v14, v15
	v_fma_f32 v17, -v12, v16, v14
	v_fmac_f32_e32 v16, v17, v15
	v_fma_f32 v12, -v12, v16, v14
	v_div_fmas_f32 v12, v12, v15, v16
                                        ; implicit-def: $vgpr14
	v_div_fixup_f32 v11, v12, v11, v13
                                        ; implicit-def: $vgpr12
                                        ; implicit-def: $vgpr13
.LBB10_32:
	s_andn2_saveexec_b64 s[12:13], s[12:13]
	s_cbranch_execz .LBB10_34
; %bb.33:
	s_mov_b32 s6, 0xf800000
	s_mov_b32 s7, 0x4f800000
	v_mul_f32_e64 v11, |v12|, s7
	v_cmp_lt_f32_e64 vcc, |v12|, s6
	v_cndmask_b32_e64 v11, |v12|, v11, vcc
	v_sqrt_f32_e32 v12, v11
	v_add_u32_e32 v15, -1, v12
	v_fma_f32 v16, -v15, v12, v11
	v_cmp_ge_f32_e64 s[6:7], 0, v16
	v_add_u32_e32 v16, 1, v12
	v_cndmask_b32_e64 v15, v12, v15, s[6:7]
	v_fma_f32 v12, -v16, v12, v11
	v_cmp_lt_f32_e64 s[6:7], 0, v12
	v_cndmask_b32_e64 v12, v15, v16, s[6:7]
	v_mul_f32_e32 v15, 0x37800000, v12
	v_cndmask_b32_e32 v12, v12, v15, vcc
	v_mov_b32_e32 v15, 0x260
	v_cmp_class_f32_e32 vcc, v11, v15
	v_cndmask_b32_e32 v11, v12, v11, vcc
	v_mul_f32_e32 v12, -0.5, v14
	v_mul_f32_e32 v12, v13, v12
	v_div_scale_f32 v13, s[6:7], v11, v11, v12
	v_div_scale_f32 v14, vcc, v12, v11, v12
	v_rcp_f32_e32 v15, v13
	v_fma_f32 v16, -v13, v15, 1.0
	v_fmac_f32_e32 v15, v16, v15
	v_mul_f32_e32 v16, v14, v15
	v_fma_f32 v17, -v13, v16, v14
	v_fmac_f32_e32 v16, v17, v15
	v_fma_f32 v13, -v13, v16, v14
	v_div_fmas_f32 v13, v13, v15, v16
	v_div_fixup_f32 v11, v13, v11, v12
.LBB10_34:
	s_or_b64 exec, exec, s[12:13]
.LBB10_35:
	s_or_b64 exec, exec, s[10:11]
.LBB10_36:
	s_or_b64 exec, exec, s[8:9]
	s_waitcnt vmcnt(0) lgkmcnt(0)
	v_add_u32_e32 v12, 0x200, v7
	v_cmp_lt_i32_e32 vcc, v12, v4
	s_and_saveexec_b64 s[8:9], vcc
	s_cbranch_execz .LBB10_50
; %bb.37:
	s_mov_b32 s6, 0x41000000
	v_cmp_le_f32_e64 s[6:7], |v8|, s6
	s_and_saveexec_b64 s[10:11], s[6:7]
	s_xor_b64 s[10:11], exec, s[10:11]
                                        ; implicit-def: $vgpr10
	s_cbranch_execz .LBB10_43
; %bb.38:
	v_fma_f32 v10, |v8|, 0.5, -2.0
	v_mov_b32_e32 v12, 0xa3c2be86
	v_fmac_f32_e32 v12, 0x224cf950, v10
	v_mov_b32_e32 v13, 0xa24cf950
	v_fmac_f32_e32 v13, v10, v12
	v_add_f32_e32 v13, 0x25331f1f, v13
	v_fma_f32 v12, v10, v13, -v12
	v_add_f32_e32 v12, 0xa69f5554, v12
	v_fma_f32 v13, v10, v12, -v13
	;; [unrolled: 2-line block ×25, first 2 shown]
	v_add_f32_e32 v12, 0xbe34a688, v12
	s_mov_b32 s6, 0x3fb8aa3b
	v_fma_f32 v10, v10, v12, -v13
	v_mul_f32_e64 v12, |v8|, s6
	v_rndne_f32_e32 v14, v12
	v_sub_f32_e32 v15, v12, v14
	v_fma_f32 v12, |v8|, s6, -v12
	s_mov_b32 s6, 0x32a5705f
	v_fma_f32 v12, |v8|, s6, v12
	v_add_f32_e32 v12, v15, v12
	v_exp_f32_e32 v15, v12
	v_cvt_i32_f32_e32 v14, v14
	v_add_f32_e32 v10, 0x3e81531c, v10
	v_sub_f32_e32 v10, v10, v13
	v_mul_f32_e32 v10, 0.5, v10
	s_mov_b32 s6, 0xc2ce8ed0
	v_mul_f32_e64 v12, |v8|, v10
	v_ldexp_f32 v10, v15, v14
	v_cmp_nlt_f32_e64 s[6:7], |v8|, s6
	v_cndmask_b32_e64 v10, 0, v10, s[6:7]
	s_mov_b32 s6, 0x42b17218
	v_mov_b32_e32 v13, 0x7f800000
	v_cmp_ngt_f32_e64 s[6:7], |v8|, s6
	v_cmp_ngt_f32_e32 vcc, 0, v8
	v_cndmask_b32_e64 v8, v13, v10, s[6:7]
	s_and_saveexec_b64 s[6:7], vcc
	s_xor_b64 s[6:7], exec, s[6:7]
                                        ; implicit-def: $vgpr10
; %bb.39:
	v_mul_f32_e32 v10, v8, v12
                                        ; implicit-def: $vgpr8
                                        ; implicit-def: $vgpr12
; %bb.40:
	s_andn2_saveexec_b64 s[6:7], s[6:7]
; %bb.41:
	v_mul_f32_e64 v10, v12, -v8
; %bb.42:
	s_or_b64 exec, exec, s[6:7]
                                        ; implicit-def: $vgpr8
.LBB10_43:
	s_andn2_saveexec_b64 s[10:11], s[10:11]
	s_cbranch_execz .LBB10_49
; %bb.44:
	v_and_b32_e32 v10, 0x7fffffff, v8
	s_mov_b32 s12, 0x42000000
	v_div_scale_f32 v12, s[6:7], v10, v10, s12
	v_div_scale_f32 v10, vcc, s12, v10, s12
	s_mov_b32 s13, 0x3fb8aa3b
	s_mov_b32 s15, 0x32a5705f
	v_mov_b32_e32 v13, 0x22a2dc57
	v_mov_b32_e32 v15, 0xa30aab6e
	v_cmp_ngt_f32_e64 s[6:7], 0, v8
	v_rcp_f32_e32 v14, v12
	v_fma_f32 v16, -v12, v14, 1.0
	v_fmac_f32_e32 v14, v16, v14
	v_mul_f32_e32 v16, v10, v14
	v_fma_f32 v17, -v12, v16, v10
	v_fmac_f32_e32 v16, v17, v14
	v_fma_f32 v10, -v12, v16, v10
	v_div_fmas_f32 v10, v10, v14, v16
	v_mul_f32_e64 v12, |v8|, s13
	v_rndne_f32_e32 v14, v12
	v_fma_f32 v16, |v8|, s13, -v12
	v_sub_f32_e32 v12, v12, v14
	v_fma_f32 v16, |v8|, s15, v16
	v_add_f32_e32 v12, v12, v16
	v_cvt_i32_f32_e32 v14, v14
	v_exp_f32_e32 v12, v12
	s_mov_b32 s13, 0xc2ce8ed0
	s_mov_b32 s15, 0x42b17218
	v_cmp_nlt_f32_e64 vcc, |v8|, s13
	v_ldexp_f32 v12, v12, v14
	v_mov_b32_e32 v16, 0x7f800000
	v_cndmask_b32_e32 v12, 0, v12, vcc
	v_cmp_ngt_f32_e64 vcc, |v8|, s15
	v_div_fixup_f32 v10, v10, |v8|, s12
	v_add_f32_e32 v10, -2.0, v10
	v_fmac_f32_e32 v13, 0x230aab6e, v10
	v_fmac_f32_e32 v15, v10, v13
	v_add_f32_e32 v14, 0xa456751e, v15
	v_fma_f32 v13, v10, v14, -v13
	v_add_f32_e32 v13, 0xa4140365, v13
	v_fma_f32 v14, v10, v13, -v14
	;; [unrolled: 2-line block ×22, first 2 shown]
	v_add_f32_e32 v10, 0x3f4750c6, v10
	v_cndmask_b32_e32 v12, v16, v12, vcc
	v_sub_f32_e32 v13, v10, v14
	s_and_saveexec_b64 s[12:13], s[6:7]
	s_xor_b64 s[12:13], exec, s[12:13]
                                        ; implicit-def: $vgpr10
	s_cbranch_execz .LBB10_46
; %bb.45:
	s_mov_b32 s6, 0xf800000
	s_mov_b32 s7, 0x4f800000
	v_mul_f32_e64 v10, |v8|, s7
	v_cmp_lt_f32_e64 vcc, |v8|, s6
	v_cndmask_b32_e64 v8, |v8|, v10, vcc
	v_sqrt_f32_e32 v10, v8
	v_mul_f32_e32 v13, 0.5, v13
	v_mul_f32_e32 v12, v12, v13
	v_add_u32_e32 v13, -1, v10
	v_fma_f32 v14, -v13, v10, v8
	v_cmp_ge_f32_e64 s[6:7], 0, v14
	v_add_u32_e32 v14, 1, v10
	v_cndmask_b32_e64 v13, v10, v13, s[6:7]
	v_fma_f32 v10, -v14, v10, v8
	v_cmp_lt_f32_e64 s[6:7], 0, v10
	v_cndmask_b32_e64 v10, v13, v14, s[6:7]
	v_mul_f32_e32 v13, 0x37800000, v10
	v_cndmask_b32_e32 v10, v10, v13, vcc
	v_mov_b32_e32 v13, 0x260
	v_cmp_class_f32_e32 vcc, v8, v13
	v_cndmask_b32_e32 v8, v10, v8, vcc
	v_div_scale_f32 v10, s[6:7], v8, v8, v12
	v_div_scale_f32 v13, vcc, v12, v8, v12
	v_rcp_f32_e32 v14, v10
	v_fma_f32 v15, -v10, v14, 1.0
	v_fmac_f32_e32 v14, v15, v14
	v_mul_f32_e32 v15, v13, v14
	v_fma_f32 v16, -v10, v15, v13
	v_fmac_f32_e32 v15, v16, v14
	v_fma_f32 v10, -v10, v15, v13
	v_div_fmas_f32 v10, v10, v14, v15
                                        ; implicit-def: $vgpr13
	v_div_fixup_f32 v10, v10, v8, v12
                                        ; implicit-def: $vgpr8
                                        ; implicit-def: $vgpr12
.LBB10_46:
	s_andn2_saveexec_b64 s[12:13], s[12:13]
	s_cbranch_execz .LBB10_48
; %bb.47:
	s_mov_b32 s6, 0xf800000
	s_mov_b32 s7, 0x4f800000
	v_mul_f32_e64 v10, |v8|, s7
	v_cmp_lt_f32_e64 vcc, |v8|, s6
	v_cndmask_b32_e64 v8, |v8|, v10, vcc
	v_sqrt_f32_e32 v10, v8
	v_add_u32_e32 v14, -1, v10
	v_fma_f32 v15, -v14, v10, v8
	v_cmp_ge_f32_e64 s[6:7], 0, v15
	v_add_u32_e32 v15, 1, v10
	v_cndmask_b32_e64 v14, v10, v14, s[6:7]
	v_fma_f32 v10, -v15, v10, v8
	v_cmp_lt_f32_e64 s[6:7], 0, v10
	v_cndmask_b32_e64 v10, v14, v15, s[6:7]
	v_mul_f32_e32 v14, 0x37800000, v10
	v_cndmask_b32_e32 v10, v10, v14, vcc
	v_mov_b32_e32 v14, 0x260
	v_cmp_class_f32_e32 vcc, v8, v14
	v_cndmask_b32_e32 v8, v10, v8, vcc
	v_mul_f32_e32 v10, -0.5, v13
	v_mul_f32_e32 v10, v12, v10
	v_div_scale_f32 v12, s[6:7], v8, v8, v10
	v_div_scale_f32 v13, vcc, v10, v8, v10
	v_rcp_f32_e32 v14, v12
	v_fma_f32 v15, -v12, v14, 1.0
	v_fmac_f32_e32 v14, v15, v14
	v_mul_f32_e32 v15, v13, v14
	v_fma_f32 v16, -v12, v15, v13
	v_fmac_f32_e32 v15, v16, v14
	v_fma_f32 v12, -v12, v15, v13
	v_div_fmas_f32 v12, v12, v14, v15
	v_div_fixup_f32 v10, v12, v8, v10
.LBB10_48:
	s_or_b64 exec, exec, s[12:13]
.LBB10_49:
	s_or_b64 exec, exec, s[10:11]
.LBB10_50:
	s_or_b64 exec, exec, s[8:9]
	v_add_u32_e32 v8, 0x300, v7
	v_cmp_lt_i32_e32 vcc, v8, v4
	s_and_saveexec_b64 s[8:9], vcc
	s_cbranch_execnz .LBB10_56
; %bb.51:
	s_or_b64 exec, exec, s[8:9]
	s_and_saveexec_b64 s[6:7], s[4:5]
	s_xor_b64 s[4:5], exec, s[6:7]
	s_cbranch_execnz .LBB10_69
.LBB10_52:
	s_or_b64 exec, exec, s[4:5]
	v_cmp_lt_i32_e32 vcc, v7, v4
	s_and_saveexec_b64 s[4:5], vcc
	s_cbranch_execnz .LBB10_70
.LBB10_53:
	s_or_b64 exec, exec, s[4:5]
	v_cmp_lt_i32_e32 vcc, v7, v4
	s_and_saveexec_b64 s[4:5], vcc
	s_cbranch_execnz .LBB10_71
.LBB10_54:
	s_or_b64 exec, exec, s[4:5]
	v_cmp_lt_i32_e32 vcc, v7, v4
	s_and_saveexec_b64 s[4:5], vcc
	s_cbranch_execnz .LBB10_72
.LBB10_55:
	s_or_b64 exec, exec, s[4:5]
	s_waitcnt vmcnt(0) lgkmcnt(0)
	s_setpc_b64 s[30:31]
.LBB10_56:
	s_mov_b32 s6, 0x41000000
	v_cmp_le_f32_e64 s[6:7], |v6|, s6
	s_and_saveexec_b64 s[10:11], s[6:7]
	s_xor_b64 s[10:11], exec, s[10:11]
                                        ; implicit-def: $vgpr9
	s_cbranch_execz .LBB10_62
; %bb.57:
	v_fma_f32 v8, |v6|, 0.5, -2.0
	v_mov_b32_e32 v9, 0xa3c2be86
	v_fmac_f32_e32 v9, 0x224cf950, v8
	v_mov_b32_e32 v12, 0xa24cf950
	v_fmac_f32_e32 v12, v8, v9
	v_add_f32_e32 v12, 0x25331f1f, v12
	v_fma_f32 v9, v8, v12, -v9
	v_add_f32_e32 v9, 0xa69f5554, v9
	v_fma_f32 v12, v8, v9, -v12
	;; [unrolled: 2-line block ×25, first 2 shown]
	v_add_f32_e32 v9, 0xbe34a688, v9
	s_mov_b32 s6, 0x3fb8aa3b
	v_fma_f32 v8, v8, v9, -v12
	v_mul_f32_e64 v9, |v6|, s6
	v_rndne_f32_e32 v13, v9
	v_sub_f32_e32 v14, v9, v13
	v_fma_f32 v9, |v6|, s6, -v9
	s_mov_b32 s6, 0x32a5705f
	v_fma_f32 v9, |v6|, s6, v9
	v_add_f32_e32 v9, v14, v9
	v_exp_f32_e32 v9, v9
	v_cvt_i32_f32_e32 v13, v13
	s_mov_b32 s6, 0xc2ce8ed0
	v_add_f32_e32 v8, 0x3e81531c, v8
	v_cmp_nlt_f32_e64 s[6:7], |v6|, s6
	v_ldexp_f32 v9, v9, v13
	v_sub_f32_e32 v8, v8, v12
	v_cndmask_b32_e64 v9, 0, v9, s[6:7]
	s_mov_b32 s6, 0x42b17218
	v_mul_f32_e32 v8, 0.5, v8
	v_mov_b32_e32 v12, 0x7f800000
	v_cmp_ngt_f32_e64 s[6:7], |v6|, s6
	v_cmp_ngt_f32_e32 vcc, 0, v6
	v_mul_f32_e64 v8, |v6|, v8
	v_cndmask_b32_e64 v6, v12, v9, s[6:7]
	s_and_saveexec_b64 s[6:7], vcc
	s_xor_b64 s[6:7], exec, s[6:7]
                                        ; implicit-def: $vgpr9
; %bb.58:
	v_mul_f32_e32 v9, v6, v8
                                        ; implicit-def: $vgpr6
                                        ; implicit-def: $vgpr8
; %bb.59:
	s_andn2_saveexec_b64 s[6:7], s[6:7]
; %bb.60:
	v_mul_f32_e64 v9, v8, -v6
; %bb.61:
	s_or_b64 exec, exec, s[6:7]
                                        ; implicit-def: $vgpr6
.LBB10_62:
	s_andn2_saveexec_b64 s[10:11], s[10:11]
	s_cbranch_execz .LBB10_68
; %bb.63:
	v_and_b32_e32 v8, 0x7fffffff, v6
	s_mov_b32 s12, 0x42000000
	v_div_scale_f32 v9, s[6:7], v8, v8, s12
	v_div_scale_f32 v8, vcc, s12, v8, s12
	s_mov_b32 s13, 0x3fb8aa3b
	s_mov_b32 s15, 0x32a5705f
	v_mov_b32_e32 v12, 0x22a2dc57
	v_mov_b32_e32 v14, 0xa30aab6e
	v_cmp_ngt_f32_e64 s[6:7], 0, v6
	v_rcp_f32_e32 v13, v9
	v_fma_f32 v15, -v9, v13, 1.0
	v_fmac_f32_e32 v13, v15, v13
	v_mul_f32_e32 v15, v8, v13
	v_fma_f32 v16, -v9, v15, v8
	v_fmac_f32_e32 v15, v16, v13
	v_fma_f32 v8, -v9, v15, v8
	v_div_fmas_f32 v8, v8, v13, v15
	v_mul_f32_e64 v9, |v6|, s13
	v_rndne_f32_e32 v13, v9
	v_fma_f32 v15, |v6|, s13, -v9
	v_sub_f32_e32 v9, v9, v13
	v_fma_f32 v15, |v6|, s15, v15
	v_add_f32_e32 v9, v9, v15
	v_cvt_i32_f32_e32 v13, v13
	v_exp_f32_e32 v9, v9
	s_mov_b32 s13, 0xc2ce8ed0
	s_mov_b32 s15, 0x42b17218
	v_cmp_nlt_f32_e64 vcc, |v6|, s13
	v_ldexp_f32 v9, v9, v13
	v_mov_b32_e32 v15, 0x7f800000
	v_cndmask_b32_e32 v9, 0, v9, vcc
	v_cmp_ngt_f32_e64 vcc, |v6|, s15
	v_div_fixup_f32 v8, v8, |v6|, s12
	v_add_f32_e32 v8, -2.0, v8
	v_fmac_f32_e32 v12, 0x230aab6e, v8
	v_fmac_f32_e32 v14, v8, v12
	v_add_f32_e32 v13, 0xa456751e, v14
	v_fma_f32 v12, v8, v13, -v12
	v_add_f32_e32 v12, 0xa4140365, v12
	v_fma_f32 v13, v8, v12, -v13
	;; [unrolled: 2-line block ×22, first 2 shown]
	v_add_f32_e32 v12, 0x3f4750c6, v8
	v_cndmask_b32_e32 v8, v15, v9, vcc
	v_sub_f32_e32 v12, v12, v13
	s_and_saveexec_b64 s[12:13], s[6:7]
	s_xor_b64 s[12:13], exec, s[12:13]
                                        ; implicit-def: $vgpr9
	s_cbranch_execz .LBB10_65
; %bb.64:
	s_mov_b32 s6, 0xf800000
	s_mov_b32 s7, 0x4f800000
	v_mul_f32_e64 v9, |v6|, s7
	v_cmp_lt_f32_e64 vcc, |v6|, s6
	v_cndmask_b32_e64 v6, |v6|, v9, vcc
	v_sqrt_f32_e32 v9, v6
	v_mul_f32_e32 v12, 0.5, v12
	v_mul_f32_e32 v8, v8, v12
	v_add_u32_e32 v12, -1, v9
	v_fma_f32 v13, -v12, v9, v6
	v_cmp_ge_f32_e64 s[6:7], 0, v13
	v_add_u32_e32 v13, 1, v9
	v_cndmask_b32_e64 v12, v9, v12, s[6:7]
	v_fma_f32 v9, -v13, v9, v6
	v_cmp_lt_f32_e64 s[6:7], 0, v9
	v_cndmask_b32_e64 v9, v12, v13, s[6:7]
	v_mul_f32_e32 v12, 0x37800000, v9
	v_cndmask_b32_e32 v9, v9, v12, vcc
	v_mov_b32_e32 v12, 0x260
	v_cmp_class_f32_e32 vcc, v6, v12
	v_cndmask_b32_e32 v6, v9, v6, vcc
	v_div_scale_f32 v9, s[6:7], v6, v6, v8
	v_div_scale_f32 v12, vcc, v8, v6, v8
	v_rcp_f32_e32 v13, v9
	v_fma_f32 v14, -v9, v13, 1.0
	v_fmac_f32_e32 v13, v14, v13
	v_mul_f32_e32 v14, v12, v13
	v_fma_f32 v15, -v9, v14, v12
	v_fmac_f32_e32 v14, v15, v13
	v_fma_f32 v9, -v9, v14, v12
	v_div_fmas_f32 v9, v9, v13, v14
                                        ; implicit-def: $vgpr12
	v_div_fixup_f32 v9, v9, v6, v8
                                        ; implicit-def: $vgpr6
                                        ; implicit-def: $vgpr8
.LBB10_65:
	s_andn2_saveexec_b64 s[12:13], s[12:13]
	s_cbranch_execz .LBB10_67
; %bb.66:
	s_mov_b32 s6, 0xf800000
	s_mov_b32 s7, 0x4f800000
	v_mul_f32_e64 v9, |v6|, s7
	v_cmp_lt_f32_e64 vcc, |v6|, s6
	v_cndmask_b32_e64 v6, |v6|, v9, vcc
	v_sqrt_f32_e32 v9, v6
	v_add_u32_e32 v13, -1, v9
	v_fma_f32 v14, -v13, v9, v6
	v_cmp_ge_f32_e64 s[6:7], 0, v14
	v_add_u32_e32 v14, 1, v9
	v_cndmask_b32_e64 v13, v9, v13, s[6:7]
	v_fma_f32 v9, -v14, v9, v6
	v_cmp_lt_f32_e64 s[6:7], 0, v9
	v_cndmask_b32_e64 v9, v13, v14, s[6:7]
	v_mul_f32_e32 v13, 0x37800000, v9
	v_cndmask_b32_e32 v9, v9, v13, vcc
	v_mov_b32_e32 v13, 0x260
	v_cmp_class_f32_e32 vcc, v6, v13
	v_cndmask_b32_e32 v6, v9, v6, vcc
	v_mul_f32_e32 v9, -0.5, v12
	v_mul_f32_e32 v8, v8, v9
	v_div_scale_f32 v9, s[6:7], v6, v6, v8
	v_div_scale_f32 v12, vcc, v8, v6, v8
	v_rcp_f32_e32 v13, v9
	v_fma_f32 v14, -v9, v13, 1.0
	v_fmac_f32_e32 v13, v14, v13
	v_mul_f32_e32 v14, v12, v13
	v_fma_f32 v15, -v9, v14, v12
	v_fmac_f32_e32 v14, v15, v13
	v_fma_f32 v9, -v9, v14, v12
	v_div_fmas_f32 v9, v9, v13, v14
	v_div_fixup_f32 v9, v9, v6, v8
.LBB10_67:
	s_or_b64 exec, exec, s[12:13]
.LBB10_68:
	s_or_b64 exec, exec, s[10:11]
	s_or_b64 exec, exec, s[8:9]
	s_and_saveexec_b64 s[6:7], s[4:5]
	s_xor_b64 s[4:5], exec, s[6:7]
	s_cbranch_execz .LBB10_52
.LBB10_69:
	v_mov_b32_e32 v6, 0
	v_lshlrev_b64 v[5:6], 2, v[5:6]
	v_mov_b32_e32 v7, v3
	v_add_co_u32_e32 v5, vcc, v0, v5
	v_addc_co_u32_e32 v6, vcc, v1, v6, vcc
	flat_store_dword v[5:6], v2
	s_or_b64 exec, exec, s[4:5]
	v_cmp_lt_i32_e32 vcc, v7, v4
	s_and_saveexec_b64 s[4:5], vcc
	s_cbranch_execz .LBB10_53
.LBB10_70:
	v_add_u32_e32 v2, s14, v7
	v_mov_b32_e32 v3, 0
	v_lshlrev_b64 v[2:3], 2, v[2:3]
	v_add_u32_e32 v7, 0x100, v7
	v_add_co_u32_e32 v2, vcc, v0, v2
	v_addc_co_u32_e32 v3, vcc, v1, v3, vcc
	flat_store_dword v[2:3], v11
	s_or_b64 exec, exec, s[4:5]
	v_cmp_lt_i32_e32 vcc, v7, v4
	s_and_saveexec_b64 s[4:5], vcc
	s_cbranch_execz .LBB10_54
.LBB10_71:
	v_add_u32_e32 v2, s14, v7
	v_mov_b32_e32 v3, 0
	v_lshlrev_b64 v[2:3], 2, v[2:3]
	v_add_u32_e32 v7, 0x100, v7
	v_add_co_u32_e32 v2, vcc, v0, v2
	v_addc_co_u32_e32 v3, vcc, v1, v3, vcc
	flat_store_dword v[2:3], v10
	s_or_b64 exec, exec, s[4:5]
	v_cmp_lt_i32_e32 vcc, v7, v4
	s_and_saveexec_b64 s[4:5], vcc
	s_cbranch_execz .LBB10_55
.LBB10_72:
	v_add_u32_e32 v2, s14, v7
	v_mov_b32_e32 v3, 0
	v_lshlrev_b64 v[2:3], 2, v[2:3]
	v_add_co_u32_e32 v0, vcc, v0, v2
	v_addc_co_u32_e32 v1, vcc, v1, v3, vcc
	flat_store_dword v[0:1], v9
	s_or_b64 exec, exec, s[4:5]
	s_waitcnt vmcnt(0) lgkmcnt(0)
	s_setpc_b64 s[30:31]
.Lfunc_end10:
	.size	_ZN2at6native25elementwise_kernel_helperILb0EZZZNS0_12_GLOBAL__N_130modified_bessel_i1_kernel_cudaERNS_18TensorIteratorBaseEENKUlvE_clEvENKUlvE0_clEvEUlfE_NS0_6memory8policies11unroll_baseILi256ESt5arrayIPcLm2EE23TrivialOffsetCalculatorILi1EjESF_NS8_15LoadWithoutCastENS8_16StoreWithoutCastELi4ELi1EEEEEvT0_T1_, .Lfunc_end10-_ZN2at6native25elementwise_kernel_helperILb0EZZZNS0_12_GLOBAL__N_130modified_bessel_i1_kernel_cudaERNS_18TensorIteratorBaseEENKUlvE_clEvENKUlvE0_clEvEUlfE_NS0_6memory8policies11unroll_baseILi256ESt5arrayIPcLm2EE23TrivialOffsetCalculatorILi1EjESF_NS8_15LoadWithoutCastENS8_16StoreWithoutCastELi4ELi1EEEEEvT0_T1_
                                        ; -- End function
	.set .L_ZN2at6native25elementwise_kernel_helperILb0EZZZNS0_12_GLOBAL__N_130modified_bessel_i1_kernel_cudaERNS_18TensorIteratorBaseEENKUlvE_clEvENKUlvE0_clEvEUlfE_NS0_6memory8policies11unroll_baseILi256ESt5arrayIPcLm2EE23TrivialOffsetCalculatorILi1EjESF_NS8_15LoadWithoutCastENS8_16StoreWithoutCastELi4ELi1EEEEEvT0_T1_.num_vgpr, 32
	.set .L_ZN2at6native25elementwise_kernel_helperILb0EZZZNS0_12_GLOBAL__N_130modified_bessel_i1_kernel_cudaERNS_18TensorIteratorBaseEENKUlvE_clEvENKUlvE0_clEvEUlfE_NS0_6memory8policies11unroll_baseILi256ESt5arrayIPcLm2EE23TrivialOffsetCalculatorILi1EjESF_NS8_15LoadWithoutCastENS8_16StoreWithoutCastELi4ELi1EEEEEvT0_T1_.num_agpr, 0
	.set .L_ZN2at6native25elementwise_kernel_helperILb0EZZZNS0_12_GLOBAL__N_130modified_bessel_i1_kernel_cudaERNS_18TensorIteratorBaseEENKUlvE_clEvENKUlvE0_clEvEUlfE_NS0_6memory8policies11unroll_baseILi256ESt5arrayIPcLm2EE23TrivialOffsetCalculatorILi1EjESF_NS8_15LoadWithoutCastENS8_16StoreWithoutCastELi4ELi1EEEEEvT0_T1_.numbered_sgpr, 32
	.set .L_ZN2at6native25elementwise_kernel_helperILb0EZZZNS0_12_GLOBAL__N_130modified_bessel_i1_kernel_cudaERNS_18TensorIteratorBaseEENKUlvE_clEvENKUlvE0_clEvEUlfE_NS0_6memory8policies11unroll_baseILi256ESt5arrayIPcLm2EE23TrivialOffsetCalculatorILi1EjESF_NS8_15LoadWithoutCastENS8_16StoreWithoutCastELi4ELi1EEEEEvT0_T1_.num_named_barrier, 0
	.set .L_ZN2at6native25elementwise_kernel_helperILb0EZZZNS0_12_GLOBAL__N_130modified_bessel_i1_kernel_cudaERNS_18TensorIteratorBaseEENKUlvE_clEvENKUlvE0_clEvEUlfE_NS0_6memory8policies11unroll_baseILi256ESt5arrayIPcLm2EE23TrivialOffsetCalculatorILi1EjESF_NS8_15LoadWithoutCastENS8_16StoreWithoutCastELi4ELi1EEEEEvT0_T1_.private_seg_size, 0
	.set .L_ZN2at6native25elementwise_kernel_helperILb0EZZZNS0_12_GLOBAL__N_130modified_bessel_i1_kernel_cudaERNS_18TensorIteratorBaseEENKUlvE_clEvENKUlvE0_clEvEUlfE_NS0_6memory8policies11unroll_baseILi256ESt5arrayIPcLm2EE23TrivialOffsetCalculatorILi1EjESF_NS8_15LoadWithoutCastENS8_16StoreWithoutCastELi4ELi1EEEEEvT0_T1_.uses_vcc, 1
	.set .L_ZN2at6native25elementwise_kernel_helperILb0EZZZNS0_12_GLOBAL__N_130modified_bessel_i1_kernel_cudaERNS_18TensorIteratorBaseEENKUlvE_clEvENKUlvE0_clEvEUlfE_NS0_6memory8policies11unroll_baseILi256ESt5arrayIPcLm2EE23TrivialOffsetCalculatorILi1EjESF_NS8_15LoadWithoutCastENS8_16StoreWithoutCastELi4ELi1EEEEEvT0_T1_.uses_flat_scratch, 0
	.set .L_ZN2at6native25elementwise_kernel_helperILb0EZZZNS0_12_GLOBAL__N_130modified_bessel_i1_kernel_cudaERNS_18TensorIteratorBaseEENKUlvE_clEvENKUlvE0_clEvEUlfE_NS0_6memory8policies11unroll_baseILi256ESt5arrayIPcLm2EE23TrivialOffsetCalculatorILi1EjESF_NS8_15LoadWithoutCastENS8_16StoreWithoutCastELi4ELi1EEEEEvT0_T1_.has_dyn_sized_stack, 0
	.set .L_ZN2at6native25elementwise_kernel_helperILb0EZZZNS0_12_GLOBAL__N_130modified_bessel_i1_kernel_cudaERNS_18TensorIteratorBaseEENKUlvE_clEvENKUlvE0_clEvEUlfE_NS0_6memory8policies11unroll_baseILi256ESt5arrayIPcLm2EE23TrivialOffsetCalculatorILi1EjESF_NS8_15LoadWithoutCastENS8_16StoreWithoutCastELi4ELi1EEEEEvT0_T1_.has_recursion, 0
	.set .L_ZN2at6native25elementwise_kernel_helperILb0EZZZNS0_12_GLOBAL__N_130modified_bessel_i1_kernel_cudaERNS_18TensorIteratorBaseEENKUlvE_clEvENKUlvE0_clEvEUlfE_NS0_6memory8policies11unroll_baseILi256ESt5arrayIPcLm2EE23TrivialOffsetCalculatorILi1EjESF_NS8_15LoadWithoutCastENS8_16StoreWithoutCastELi4ELi1EEEEEvT0_T1_.has_indirect_call, 0
	.section	.AMDGPU.csdata,"",@progbits
; Function info:
; codeLenInByte = 7552
; TotalNumSgprs: 36
; NumVgprs: 32
; ScratchSize: 0
; MemoryBound: 0
	.text
	.p2align	2                               ; -- Begin function _ZN2at6native25elementwise_kernel_helperILb0EZZZNS0_12_GLOBAL__N_130modified_bessel_i1_kernel_cudaERNS_18TensorIteratorBaseEENKUlvE_clEvENKUlvE0_clEvEUlfE_NS0_6memory8policies10vectorizedILi4ESt5arrayIPcLm2EELi4EEEEEvT0_T1_
	.type	_ZN2at6native25elementwise_kernel_helperILb0EZZZNS0_12_GLOBAL__N_130modified_bessel_i1_kernel_cudaERNS_18TensorIteratorBaseEENKUlvE_clEvENKUlvE0_clEvEUlfE_NS0_6memory8policies10vectorizedILi4ESt5arrayIPcLm2EELi4EEEEEvT0_T1_,@function
_ZN2at6native25elementwise_kernel_helperILb0EZZZNS0_12_GLOBAL__N_130modified_bessel_i1_kernel_cudaERNS_18TensorIteratorBaseEENKUlvE_clEvENKUlvE0_clEvEUlfE_NS0_6memory8policies10vectorizedILi4ESt5arrayIPcLm2EELi4EEEEEvT0_T1_: ; @_ZN2at6native25elementwise_kernel_helperILb0EZZZNS0_12_GLOBAL__N_130modified_bessel_i1_kernel_cudaERNS_18TensorIteratorBaseEENKUlvE_clEvENKUlvE0_clEvEUlfE_NS0_6memory8policies10vectorizedILi4ESt5arrayIPcLm2EELi4EEEEEvT0_T1_
; %bb.0:
	s_waitcnt vmcnt(0) expcnt(0) lgkmcnt(0)
	s_lshl_b32 s4, s12, 10
	s_ashr_i32 s5, s4, 31
	s_lshl_b64 s[6:7], s[4:5], 2
	v_mov_b32_e32 v4, s7
	v_add_co_u32_e32 v2, vcc, s6, v2
	v_addc_co_u32_e32 v3, vcc, v3, v4, vcc
	v_and_b32_e32 v4, 0x3ff, v31
	v_lshlrev_b32_e32 v10, 4, v4
	v_add_co_u32_e32 v2, vcc, v2, v10
	v_addc_co_u32_e32 v3, vcc, 0, v3, vcc
	flat_load_dwordx4 v[2:5], v[2:3]
	s_mov_b32 s4, 0x41000000
                                        ; implicit-def: $vgpr6
	s_waitcnt vmcnt(0) lgkmcnt(0)
	v_cmp_le_f32_e64 s[4:5], |v2|, s4
	s_and_saveexec_b64 s[8:9], s[4:5]
	s_xor_b64 s[8:9], exec, s[8:9]
	s_cbranch_execz .LBB11_6
; %bb.1:
	v_fma_f32 v6, |v2|, 0.5, -2.0
	v_mov_b32_e32 v7, 0xa3c2be86
	v_fmac_f32_e32 v7, 0x224cf950, v6
	v_mov_b32_e32 v8, 0xa24cf950
	v_fmac_f32_e32 v8, v6, v7
	v_add_f32_e32 v8, 0x25331f1f, v8
	v_fma_f32 v7, v6, v8, -v7
	v_add_f32_e32 v7, 0xa69f5554, v7
	v_fma_f32 v8, v6, v7, -v8
	;; [unrolled: 2-line block ×25, first 2 shown]
	v_add_f32_e32 v7, 0xbe34a688, v7
	s_mov_b32 s4, 0x3fb8aa3b
	v_fma_f32 v6, v6, v7, -v8
	v_mul_f32_e64 v7, |v2|, s4
	v_rndne_f32_e32 v9, v7
	v_sub_f32_e32 v11, v7, v9
	v_fma_f32 v7, |v2|, s4, -v7
	s_mov_b32 s4, 0x32a5705f
	v_fma_f32 v7, |v2|, s4, v7
	v_add_f32_e32 v7, v11, v7
	v_exp_f32_e32 v11, v7
	v_cvt_i32_f32_e32 v9, v9
	v_add_f32_e32 v6, 0x3e81531c, v6
	v_sub_f32_e32 v6, v6, v8
	v_mul_f32_e32 v6, 0.5, v6
	s_mov_b32 s4, 0xc2ce8ed0
	v_mul_f32_e64 v7, |v2|, v6
	v_ldexp_f32 v6, v11, v9
	v_cmp_nlt_f32_e64 s[4:5], |v2|, s4
	v_cndmask_b32_e64 v6, 0, v6, s[4:5]
	s_mov_b32 s4, 0x42b17218
	v_mov_b32_e32 v8, 0x7f800000
	v_cmp_ngt_f32_e64 s[4:5], |v2|, s4
	v_cmp_ngt_f32_e32 vcc, 0, v2
	v_cndmask_b32_e64 v8, v8, v6, s[4:5]
                                        ; implicit-def: $vgpr6
	s_and_saveexec_b64 s[4:5], vcc
	s_xor_b64 s[4:5], exec, s[4:5]
; %bb.2:
	v_mul_f32_e32 v6, v8, v7
                                        ; implicit-def: $vgpr8
                                        ; implicit-def: $vgpr7
; %bb.3:
	s_andn2_saveexec_b64 s[4:5], s[4:5]
; %bb.4:
	v_mul_f32_e64 v6, v7, -v8
; %bb.5:
	s_or_b64 exec, exec, s[4:5]
.LBB11_6:
	s_andn2_saveexec_b64 s[8:9], s[8:9]
	s_cbranch_execz .LBB11_12
; %bb.7:
	v_and_b32_e32 v6, 0x7fffffff, v2
	s_mov_b32 s10, 0x42000000
	v_div_scale_f32 v7, s[4:5], v6, v6, s10
	v_div_scale_f32 v6, vcc, s10, v6, s10
	s_mov_b32 s11, 0x3fb8aa3b
	s_mov_b32 s12, 0x32a5705f
	v_mov_b32_e32 v8, 0x22a2dc57
	v_mov_b32_e32 v11, 0xa30aab6e
	v_cmp_ngt_f32_e64 s[4:5], 0, v2
	v_rcp_f32_e32 v9, v7
	v_fma_f32 v12, -v7, v9, 1.0
	v_fmac_f32_e32 v9, v12, v9
	v_mul_f32_e32 v12, v6, v9
	v_fma_f32 v13, -v7, v12, v6
	v_fmac_f32_e32 v12, v13, v9
	v_fma_f32 v6, -v7, v12, v6
	v_div_fmas_f32 v6, v6, v9, v12
	v_mul_f32_e64 v7, |v2|, s11
	v_rndne_f32_e32 v9, v7
	v_fma_f32 v12, |v2|, s11, -v7
	v_sub_f32_e32 v7, v7, v9
	v_fma_f32 v12, |v2|, s12, v12
	v_add_f32_e32 v7, v7, v12
	v_cvt_i32_f32_e32 v9, v9
	v_exp_f32_e32 v7, v7
	s_mov_b32 s11, 0xc2ce8ed0
	s_mov_b32 s12, 0x42b17218
	v_cmp_nlt_f32_e64 vcc, |v2|, s11
	v_ldexp_f32 v7, v7, v9
	v_mov_b32_e32 v12, 0x7f800000
	v_cndmask_b32_e32 v7, 0, v7, vcc
	v_cmp_ngt_f32_e64 vcc, |v2|, s12
	v_div_fixup_f32 v6, v6, |v2|, s10
	v_add_f32_e32 v6, -2.0, v6
	v_fmac_f32_e32 v8, 0x230aab6e, v6
	v_fmac_f32_e32 v11, v6, v8
	v_add_f32_e32 v9, 0xa456751e, v11
	v_fma_f32 v8, v6, v9, -v8
	v_add_f32_e32 v8, 0xa4140365, v8
	v_fma_f32 v9, v6, v8, -v9
	;; [unrolled: 2-line block ×22, first 2 shown]
	v_add_f32_e32 v6, 0x3f4750c6, v6
	v_cndmask_b32_e32 v7, v12, v7, vcc
	v_sub_f32_e32 v8, v6, v9
                                        ; implicit-def: $vgpr6
	s_and_saveexec_b64 s[10:11], s[4:5]
	s_xor_b64 s[10:11], exec, s[10:11]
	s_cbranch_execz .LBB11_9
; %bb.8:
	s_mov_b32 s4, 0xf800000
	s_mov_b32 s5, 0x4f800000
	v_mul_f32_e64 v6, |v2|, s5
	v_cmp_lt_f32_e64 vcc, |v2|, s4
	v_cndmask_b32_e64 v6, |v2|, v6, vcc
	v_sqrt_f32_e32 v9, v6
	v_mul_f32_e32 v8, 0.5, v8
	v_mul_f32_e32 v7, v7, v8
	v_add_u32_e32 v8, -1, v9
	v_fma_f32 v11, -v8, v9, v6
	v_cmp_ge_f32_e64 s[4:5], 0, v11
	v_add_u32_e32 v11, 1, v9
	v_cndmask_b32_e64 v8, v9, v8, s[4:5]
	v_fma_f32 v9, -v11, v9, v6
	v_cmp_lt_f32_e64 s[4:5], 0, v9
	v_cndmask_b32_e64 v8, v8, v11, s[4:5]
	v_mul_f32_e32 v9, 0x37800000, v8
	v_cndmask_b32_e32 v8, v8, v9, vcc
	v_mov_b32_e32 v9, 0x260
	v_cmp_class_f32_e32 vcc, v6, v9
	v_cndmask_b32_e32 v6, v8, v6, vcc
	v_div_scale_f32 v8, s[4:5], v6, v6, v7
	v_div_scale_f32 v9, vcc, v7, v6, v7
	v_rcp_f32_e32 v11, v8
	v_fma_f32 v12, -v8, v11, 1.0
	v_fmac_f32_e32 v11, v12, v11
	v_mul_f32_e32 v12, v9, v11
	v_fma_f32 v13, -v8, v12, v9
	v_fmac_f32_e32 v12, v13, v11
	v_fma_f32 v8, -v8, v12, v9
	v_div_fmas_f32 v8, v8, v11, v12
	v_div_fixup_f32 v6, v8, v6, v7
                                        ; implicit-def: $vgpr8
                                        ; implicit-def: $vgpr7
.LBB11_9:
	s_andn2_saveexec_b64 s[10:11], s[10:11]
	s_cbranch_execz .LBB11_11
; %bb.10:
	s_mov_b32 s4, 0xf800000
	s_mov_b32 s5, 0x4f800000
	v_mul_f32_e64 v6, |v2|, s5
	v_cmp_lt_f32_e64 vcc, |v2|, s4
	v_cndmask_b32_e64 v2, |v2|, v6, vcc
	v_sqrt_f32_e32 v6, v2
	v_add_u32_e32 v9, -1, v6
	v_fma_f32 v11, -v9, v6, v2
	v_cmp_ge_f32_e64 s[4:5], 0, v11
	v_add_u32_e32 v11, 1, v6
	v_cndmask_b32_e64 v9, v6, v9, s[4:5]
	v_fma_f32 v6, -v11, v6, v2
	v_cmp_lt_f32_e64 s[4:5], 0, v6
	v_cndmask_b32_e64 v6, v9, v11, s[4:5]
	v_mul_f32_e32 v9, 0x37800000, v6
	v_cndmask_b32_e32 v6, v6, v9, vcc
	v_mov_b32_e32 v9, 0x260
	v_cmp_class_f32_e32 vcc, v2, v9
	v_cndmask_b32_e32 v2, v6, v2, vcc
	v_mul_f32_e32 v6, -0.5, v8
	v_mul_f32_e32 v6, v7, v6
	v_div_scale_f32 v7, s[4:5], v2, v2, v6
	v_div_scale_f32 v8, vcc, v6, v2, v6
	v_rcp_f32_e32 v9, v7
	v_fma_f32 v11, -v7, v9, 1.0
	v_fmac_f32_e32 v9, v11, v9
	v_mul_f32_e32 v11, v8, v9
	v_fma_f32 v12, -v7, v11, v8
	v_fmac_f32_e32 v11, v12, v9
	v_fma_f32 v7, -v7, v11, v8
	v_div_fmas_f32 v7, v7, v9, v11
	v_div_fixup_f32 v6, v7, v2, v6
.LBB11_11:
	s_or_b64 exec, exec, s[10:11]
.LBB11_12:
	s_or_b64 exec, exec, s[8:9]
	s_mov_b32 s4, 0x41000000
	v_cmp_le_f32_e64 s[4:5], |v3|, s4
	s_and_saveexec_b64 s[8:9], s[4:5]
	s_xor_b64 s[8:9], exec, s[8:9]
	s_cbranch_execz .LBB11_18
; %bb.13:
	v_fma_f32 v2, |v3|, 0.5, -2.0
	v_mov_b32_e32 v7, 0xa3c2be86
	v_fmac_f32_e32 v7, 0x224cf950, v2
	v_mov_b32_e32 v8, 0xa24cf950
	v_fmac_f32_e32 v8, v2, v7
	v_add_f32_e32 v8, 0x25331f1f, v8
	v_fma_f32 v7, v2, v8, -v7
	v_add_f32_e32 v7, 0xa69f5554, v7
	v_fma_f32 v8, v2, v7, -v8
	;; [unrolled: 2-line block ×25, first 2 shown]
	v_add_f32_e32 v7, 0xbe34a688, v7
	s_mov_b32 s4, 0x3fb8aa3b
	v_fma_f32 v2, v2, v7, -v8
	v_mul_f32_e64 v7, |v3|, s4
	v_rndne_f32_e32 v9, v7
	v_sub_f32_e32 v11, v7, v9
	v_fma_f32 v7, |v3|, s4, -v7
	s_mov_b32 s4, 0x32a5705f
	v_fma_f32 v7, |v3|, s4, v7
	v_add_f32_e32 v7, v11, v7
	v_exp_f32_e32 v7, v7
	v_cvt_i32_f32_e32 v9, v9
	s_mov_b32 s4, 0xc2ce8ed0
	v_add_f32_e32 v2, 0x3e81531c, v2
	v_cmp_nlt_f32_e64 s[4:5], |v3|, s4
	v_ldexp_f32 v7, v7, v9
	v_sub_f32_e32 v2, v2, v8
	v_cndmask_b32_e64 v7, 0, v7, s[4:5]
	s_mov_b32 s4, 0x42b17218
	v_mul_f32_e32 v2, 0.5, v2
	v_mov_b32_e32 v8, 0x7f800000
	v_cmp_ngt_f32_e64 s[4:5], |v3|, s4
	v_cmp_ngt_f32_e32 vcc, 0, v3
	v_mul_f32_e64 v2, |v3|, v2
	v_cndmask_b32_e64 v8, v8, v7, s[4:5]
	s_and_saveexec_b64 s[4:5], vcc
	s_xor_b64 s[4:5], exec, s[4:5]
; %bb.14:
	v_mul_f32_e32 v7, v8, v2
                                        ; implicit-def: $vgpr8
                                        ; implicit-def: $vgpr2
; %bb.15:
	s_andn2_saveexec_b64 s[4:5], s[4:5]
; %bb.16:
	v_mul_f32_e64 v7, v2, -v8
; %bb.17:
	s_or_b64 exec, exec, s[4:5]
.LBB11_18:
	s_andn2_saveexec_b64 s[8:9], s[8:9]
	s_cbranch_execz .LBB11_24
; %bb.19:
	v_and_b32_e32 v2, 0x7fffffff, v3
	s_mov_b32 s10, 0x42000000
	v_div_scale_f32 v7, s[4:5], v2, v2, s10
	v_div_scale_f32 v2, vcc, s10, v2, s10
	s_mov_b32 s11, 0x3fb8aa3b
	s_mov_b32 s12, 0x32a5705f
	v_mov_b32_e32 v8, 0x22a2dc57
	v_mov_b32_e32 v11, 0xa30aab6e
	v_cmp_ngt_f32_e64 s[4:5], 0, v3
	v_rcp_f32_e32 v9, v7
	v_fma_f32 v12, -v7, v9, 1.0
	v_fmac_f32_e32 v9, v12, v9
	v_mul_f32_e32 v12, v2, v9
	v_fma_f32 v13, -v7, v12, v2
	v_fmac_f32_e32 v12, v13, v9
	v_fma_f32 v2, -v7, v12, v2
	v_div_fmas_f32 v2, v2, v9, v12
	v_mul_f32_e64 v7, |v3|, s11
	v_rndne_f32_e32 v9, v7
	v_fma_f32 v12, |v3|, s11, -v7
	v_sub_f32_e32 v7, v7, v9
	v_fma_f32 v12, |v3|, s12, v12
	v_add_f32_e32 v7, v7, v12
	v_cvt_i32_f32_e32 v9, v9
	v_exp_f32_e32 v7, v7
	s_mov_b32 s11, 0xc2ce8ed0
	s_mov_b32 s12, 0x42b17218
	v_cmp_nlt_f32_e64 vcc, |v3|, s11
	v_ldexp_f32 v7, v7, v9
	v_mov_b32_e32 v12, 0x7f800000
	v_cndmask_b32_e32 v7, 0, v7, vcc
	v_cmp_ngt_f32_e64 vcc, |v3|, s12
	v_div_fixup_f32 v2, v2, |v3|, s10
	v_add_f32_e32 v2, -2.0, v2
	v_fmac_f32_e32 v8, 0x230aab6e, v2
	v_fmac_f32_e32 v11, v2, v8
	v_add_f32_e32 v9, 0xa456751e, v11
	v_fma_f32 v8, v2, v9, -v8
	v_add_f32_e32 v8, 0xa4140365, v8
	v_fma_f32 v9, v2, v8, -v9
	;; [unrolled: 2-line block ×22, first 2 shown]
	v_add_f32_e32 v8, 0x3f4750c6, v2
	v_cndmask_b32_e32 v2, v12, v7, vcc
	v_sub_f32_e32 v8, v8, v9
	s_and_saveexec_b64 s[10:11], s[4:5]
	s_xor_b64 s[10:11], exec, s[10:11]
	s_cbranch_execz .LBB11_21
; %bb.20:
	s_mov_b32 s4, 0xf800000
	s_mov_b32 s5, 0x4f800000
	v_mul_f32_e64 v7, |v3|, s5
	v_cmp_lt_f32_e64 vcc, |v3|, s4
	v_cndmask_b32_e64 v7, |v3|, v7, vcc
	v_sqrt_f32_e32 v9, v7
	v_mul_f32_e32 v8, 0.5, v8
	v_mul_f32_e32 v2, v2, v8
	v_add_u32_e32 v8, -1, v9
	v_fma_f32 v11, -v8, v9, v7
	v_cmp_ge_f32_e64 s[4:5], 0, v11
	v_add_u32_e32 v11, 1, v9
	v_cndmask_b32_e64 v8, v9, v8, s[4:5]
	v_fma_f32 v9, -v11, v9, v7
	v_cmp_lt_f32_e64 s[4:5], 0, v9
	v_cndmask_b32_e64 v8, v8, v11, s[4:5]
	v_mul_f32_e32 v9, 0x37800000, v8
	v_cndmask_b32_e32 v8, v8, v9, vcc
	v_mov_b32_e32 v9, 0x260
	v_cmp_class_f32_e32 vcc, v7, v9
	v_cndmask_b32_e32 v7, v8, v7, vcc
	v_div_scale_f32 v8, s[4:5], v7, v7, v2
	v_div_scale_f32 v9, vcc, v2, v7, v2
	v_rcp_f32_e32 v11, v8
	v_fma_f32 v12, -v8, v11, 1.0
	v_fmac_f32_e32 v11, v12, v11
	v_mul_f32_e32 v12, v9, v11
	v_fma_f32 v13, -v8, v12, v9
	v_fmac_f32_e32 v12, v13, v11
	v_fma_f32 v8, -v8, v12, v9
	v_div_fmas_f32 v8, v8, v11, v12
	v_div_fixup_f32 v7, v8, v7, v2
                                        ; implicit-def: $vgpr8
                                        ; implicit-def: $vgpr2
.LBB11_21:
	s_andn2_saveexec_b64 s[10:11], s[10:11]
	s_cbranch_execz .LBB11_23
; %bb.22:
	s_mov_b32 s4, 0xf800000
	s_mov_b32 s5, 0x4f800000
	v_mul_f32_e64 v7, |v3|, s5
	v_cmp_lt_f32_e64 vcc, |v3|, s4
	v_cndmask_b32_e64 v3, |v3|, v7, vcc
	v_sqrt_f32_e32 v7, v3
	v_add_u32_e32 v9, -1, v7
	v_fma_f32 v11, -v9, v7, v3
	v_cmp_ge_f32_e64 s[4:5], 0, v11
	v_add_u32_e32 v11, 1, v7
	v_cndmask_b32_e64 v9, v7, v9, s[4:5]
	v_fma_f32 v7, -v11, v7, v3
	v_cmp_lt_f32_e64 s[4:5], 0, v7
	v_cndmask_b32_e64 v7, v9, v11, s[4:5]
	v_mul_f32_e32 v9, 0x37800000, v7
	v_cndmask_b32_e32 v7, v7, v9, vcc
	v_mov_b32_e32 v9, 0x260
	v_cmp_class_f32_e32 vcc, v3, v9
	v_cndmask_b32_e32 v3, v7, v3, vcc
	v_mul_f32_e32 v7, -0.5, v8
	v_mul_f32_e32 v2, v2, v7
	v_div_scale_f32 v7, s[4:5], v3, v3, v2
	v_div_scale_f32 v8, vcc, v2, v3, v2
	v_rcp_f32_e32 v9, v7
	v_fma_f32 v11, -v7, v9, 1.0
	v_fmac_f32_e32 v9, v11, v9
	v_mul_f32_e32 v11, v8, v9
	v_fma_f32 v12, -v7, v11, v8
	v_fmac_f32_e32 v11, v12, v9
	v_fma_f32 v7, -v7, v11, v8
	v_div_fmas_f32 v7, v7, v9, v11
	v_div_fixup_f32 v7, v7, v3, v2
.LBB11_23:
	s_or_b64 exec, exec, s[10:11]
.LBB11_24:
	s_or_b64 exec, exec, s[8:9]
	s_mov_b32 s4, 0x41000000
	v_cmp_le_f32_e64 s[4:5], |v4|, s4
	s_and_saveexec_b64 s[8:9], s[4:5]
	s_xor_b64 s[8:9], exec, s[8:9]
	s_cbranch_execz .LBB11_30
; %bb.25:
	v_fma_f32 v2, |v4|, 0.5, -2.0
	v_mov_b32_e32 v3, 0xa3c2be86
	v_fmac_f32_e32 v3, 0x224cf950, v2
	v_mov_b32_e32 v8, 0xa24cf950
	v_fmac_f32_e32 v8, v2, v3
	v_add_f32_e32 v8, 0x25331f1f, v8
	v_fma_f32 v3, v2, v8, -v3
	v_add_f32_e32 v3, 0xa69f5554, v3
	v_fma_f32 v8, v2, v3, -v8
	;; [unrolled: 2-line block ×25, first 2 shown]
	v_add_f32_e32 v3, 0xbe34a688, v3
	s_mov_b32 s4, 0x3fb8aa3b
	v_fma_f32 v2, v2, v3, -v8
	v_mul_f32_e64 v3, |v4|, s4
	v_rndne_f32_e32 v9, v3
	v_sub_f32_e32 v11, v3, v9
	v_fma_f32 v3, |v4|, s4, -v3
	s_mov_b32 s4, 0x32a5705f
	v_fma_f32 v3, |v4|, s4, v3
	v_add_f32_e32 v3, v11, v3
	v_exp_f32_e32 v3, v3
	v_cvt_i32_f32_e32 v9, v9
	s_mov_b32 s4, 0xc2ce8ed0
	v_add_f32_e32 v2, 0x3e81531c, v2
	v_cmp_nlt_f32_e64 s[4:5], |v4|, s4
	v_ldexp_f32 v3, v3, v9
	v_sub_f32_e32 v2, v2, v8
	v_cndmask_b32_e64 v3, 0, v3, s[4:5]
	s_mov_b32 s4, 0x42b17218
	v_mul_f32_e32 v2, 0.5, v2
	v_mov_b32_e32 v8, 0x7f800000
	v_cmp_ngt_f32_e64 s[4:5], |v4|, s4
	v_cmp_ngt_f32_e32 vcc, 0, v4
	v_mul_f32_e64 v2, |v4|, v2
	v_cndmask_b32_e64 v3, v8, v3, s[4:5]
	s_and_saveexec_b64 s[4:5], vcc
	s_xor_b64 s[4:5], exec, s[4:5]
; %bb.26:
	v_mul_f32_e32 v8, v3, v2
                                        ; implicit-def: $vgpr3
                                        ; implicit-def: $vgpr2
; %bb.27:
	s_andn2_saveexec_b64 s[4:5], s[4:5]
; %bb.28:
	v_mul_f32_e64 v8, v2, -v3
; %bb.29:
	s_or_b64 exec, exec, s[4:5]
.LBB11_30:
	s_andn2_saveexec_b64 s[8:9], s[8:9]
	s_cbranch_execz .LBB11_36
; %bb.31:
	v_and_b32_e32 v2, 0x7fffffff, v4
	s_mov_b32 s10, 0x42000000
	v_div_scale_f32 v3, s[4:5], v2, v2, s10
	v_div_scale_f32 v2, vcc, s10, v2, s10
	s_mov_b32 s11, 0x3fb8aa3b
	s_mov_b32 s12, 0x32a5705f
	v_mov_b32_e32 v8, 0x22a2dc57
	v_mov_b32_e32 v11, 0xa30aab6e
	v_cmp_ngt_f32_e64 s[4:5], 0, v4
	v_rcp_f32_e32 v9, v3
	v_fma_f32 v12, -v3, v9, 1.0
	v_fmac_f32_e32 v9, v12, v9
	v_mul_f32_e32 v12, v2, v9
	v_fma_f32 v13, -v3, v12, v2
	v_fmac_f32_e32 v12, v13, v9
	v_fma_f32 v2, -v3, v12, v2
	v_div_fmas_f32 v2, v2, v9, v12
	v_mul_f32_e64 v3, |v4|, s11
	v_rndne_f32_e32 v9, v3
	v_fma_f32 v12, |v4|, s11, -v3
	v_sub_f32_e32 v3, v3, v9
	v_fma_f32 v12, |v4|, s12, v12
	v_add_f32_e32 v3, v3, v12
	v_cvt_i32_f32_e32 v9, v9
	v_exp_f32_e32 v3, v3
	s_mov_b32 s11, 0xc2ce8ed0
	s_mov_b32 s12, 0x42b17218
	v_cmp_nlt_f32_e64 vcc, |v4|, s11
	v_ldexp_f32 v3, v3, v9
	v_mov_b32_e32 v12, 0x7f800000
	v_cndmask_b32_e32 v3, 0, v3, vcc
	v_cmp_ngt_f32_e64 vcc, |v4|, s12
	v_div_fixup_f32 v2, v2, |v4|, s10
	v_add_f32_e32 v2, -2.0, v2
	v_fmac_f32_e32 v8, 0x230aab6e, v2
	v_fmac_f32_e32 v11, v2, v8
	v_add_f32_e32 v9, 0xa456751e, v11
	v_fma_f32 v8, v2, v9, -v8
	v_add_f32_e32 v8, 0xa4140365, v8
	v_fma_f32 v9, v2, v8, -v9
	;; [unrolled: 2-line block ×22, first 2 shown]
	v_add_f32_e32 v8, 0x3f4750c6, v2
	v_cndmask_b32_e32 v2, v12, v3, vcc
	v_sub_f32_e32 v3, v8, v9
	s_and_saveexec_b64 s[10:11], s[4:5]
	s_xor_b64 s[10:11], exec, s[10:11]
	s_cbranch_execz .LBB11_33
; %bb.32:
	s_mov_b32 s4, 0xf800000
	s_mov_b32 s5, 0x4f800000
	v_mul_f32_e64 v8, |v4|, s5
	v_cmp_lt_f32_e64 vcc, |v4|, s4
	v_cndmask_b32_e64 v8, |v4|, v8, vcc
	v_sqrt_f32_e32 v9, v8
	v_mul_f32_e32 v3, 0.5, v3
	v_mul_f32_e32 v2, v2, v3
	v_add_u32_e32 v3, -1, v9
	v_fma_f32 v11, -v3, v9, v8
	v_cmp_ge_f32_e64 s[4:5], 0, v11
	v_add_u32_e32 v11, 1, v9
	v_cndmask_b32_e64 v3, v9, v3, s[4:5]
	v_fma_f32 v9, -v11, v9, v8
	v_cmp_lt_f32_e64 s[4:5], 0, v9
	v_cndmask_b32_e64 v3, v3, v11, s[4:5]
	v_mul_f32_e32 v9, 0x37800000, v3
	v_cndmask_b32_e32 v3, v3, v9, vcc
	v_mov_b32_e32 v9, 0x260
	v_cmp_class_f32_e32 vcc, v8, v9
	v_cndmask_b32_e32 v3, v3, v8, vcc
	v_div_scale_f32 v8, s[4:5], v3, v3, v2
	v_div_scale_f32 v9, vcc, v2, v3, v2
	v_rcp_f32_e32 v11, v8
	v_fma_f32 v12, -v8, v11, 1.0
	v_fmac_f32_e32 v11, v12, v11
	v_mul_f32_e32 v12, v9, v11
	v_fma_f32 v13, -v8, v12, v9
	v_fmac_f32_e32 v12, v13, v11
	v_fma_f32 v8, -v8, v12, v9
	v_div_fmas_f32 v8, v8, v11, v12
	v_div_fixup_f32 v8, v8, v3, v2
                                        ; implicit-def: $vgpr3
                                        ; implicit-def: $vgpr2
.LBB11_33:
	s_andn2_saveexec_b64 s[10:11], s[10:11]
	s_cbranch_execz .LBB11_35
; %bb.34:
	s_mov_b32 s4, 0xf800000
	s_mov_b32 s5, 0x4f800000
	v_mul_f32_e64 v8, |v4|, s5
	v_cmp_lt_f32_e64 vcc, |v4|, s4
	v_cndmask_b32_e64 v4, |v4|, v8, vcc
	v_sqrt_f32_e32 v8, v4
	v_mul_f32_e32 v3, -0.5, v3
	v_mul_f32_e32 v2, v2, v3
	v_add_u32_e32 v9, -1, v8
	v_fma_f32 v11, -v9, v8, v4
	v_cmp_ge_f32_e64 s[4:5], 0, v11
	v_add_u32_e32 v11, 1, v8
	v_cndmask_b32_e64 v9, v8, v9, s[4:5]
	v_fma_f32 v8, -v11, v8, v4
	v_cmp_lt_f32_e64 s[4:5], 0, v8
	v_cndmask_b32_e64 v8, v9, v11, s[4:5]
	v_mul_f32_e32 v9, 0x37800000, v8
	v_cndmask_b32_e32 v8, v8, v9, vcc
	v_mov_b32_e32 v9, 0x260
	v_cmp_class_f32_e32 vcc, v4, v9
	v_cndmask_b32_e32 v4, v8, v4, vcc
	v_div_scale_f32 v3, s[4:5], v4, v4, v2
	v_div_scale_f32 v8, vcc, v2, v4, v2
	v_rcp_f32_e32 v9, v3
	v_fma_f32 v11, -v3, v9, 1.0
	v_fmac_f32_e32 v9, v11, v9
	v_mul_f32_e32 v11, v8, v9
	v_fma_f32 v12, -v3, v11, v8
	v_fmac_f32_e32 v11, v12, v9
	v_fma_f32 v3, -v3, v11, v8
	v_div_fmas_f32 v3, v3, v9, v11
	v_div_fixup_f32 v8, v3, v4, v2
.LBB11_35:
	s_or_b64 exec, exec, s[10:11]
.LBB11_36:
	s_or_b64 exec, exec, s[8:9]
	s_mov_b32 s4, 0x41000000
	v_cmp_le_f32_e64 s[4:5], |v5|, s4
	s_and_saveexec_b64 s[8:9], s[4:5]
	s_xor_b64 s[8:9], exec, s[8:9]
	s_cbranch_execz .LBB11_42
; %bb.37:
	v_fma_f32 v2, |v5|, 0.5, -2.0
	v_mov_b32_e32 v3, 0xa3c2be86
	v_fmac_f32_e32 v3, 0x224cf950, v2
	v_mov_b32_e32 v4, 0xa24cf950
	v_fmac_f32_e32 v4, v2, v3
	v_add_f32_e32 v4, 0x25331f1f, v4
	v_fma_f32 v3, v2, v4, -v3
	v_add_f32_e32 v3, 0xa69f5554, v3
	v_fma_f32 v4, v2, v3, -v4
	;; [unrolled: 2-line block ×25, first 2 shown]
	v_add_f32_e32 v3, 0xbe34a688, v3
	s_mov_b32 s4, 0x3fb8aa3b
	v_fma_f32 v2, v2, v3, -v4
	v_mul_f32_e64 v3, |v5|, s4
	v_rndne_f32_e32 v9, v3
	v_sub_f32_e32 v11, v3, v9
	v_fma_f32 v3, |v5|, s4, -v3
	s_mov_b32 s4, 0x32a5705f
	v_fma_f32 v3, |v5|, s4, v3
	v_add_f32_e32 v3, v11, v3
	v_exp_f32_e32 v3, v3
	v_cvt_i32_f32_e32 v9, v9
	s_mov_b32 s4, 0xc2ce8ed0
	v_add_f32_e32 v2, 0x3e81531c, v2
	v_cmp_nlt_f32_e64 s[4:5], |v5|, s4
	v_ldexp_f32 v3, v3, v9
	v_sub_f32_e32 v2, v2, v4
	v_cndmask_b32_e64 v3, 0, v3, s[4:5]
	s_mov_b32 s4, 0x42b17218
	v_mul_f32_e32 v2, 0.5, v2
	v_mov_b32_e32 v4, 0x7f800000
	v_cmp_ngt_f32_e64 s[4:5], |v5|, s4
	v_cmp_ngt_f32_e32 vcc, 0, v5
	v_mul_f32_e64 v2, |v5|, v2
	v_cndmask_b32_e64 v3, v4, v3, s[4:5]
	s_and_saveexec_b64 s[4:5], vcc
	s_xor_b64 s[4:5], exec, s[4:5]
; %bb.38:
	v_mul_f32_e32 v9, v3, v2
                                        ; implicit-def: $vgpr3
                                        ; implicit-def: $vgpr2
; %bb.39:
	s_andn2_saveexec_b64 s[4:5], s[4:5]
; %bb.40:
	v_mul_f32_e64 v9, v2, -v3
; %bb.41:
	s_or_b64 exec, exec, s[4:5]
                                        ; implicit-def: $vgpr2_vgpr3_vgpr4_vgpr5
.LBB11_42:
	s_andn2_saveexec_b64 s[8:9], s[8:9]
	s_cbranch_execz .LBB11_48
; %bb.43:
	v_and_b32_e32 v2, 0x7fffffff, v5
	s_mov_b32 s10, 0x42000000
	v_div_scale_f32 v3, s[4:5], v2, v2, s10
	v_div_scale_f32 v2, vcc, s10, v2, s10
	s_mov_b32 s11, 0x3fb8aa3b
	s_mov_b32 s12, 0x32a5705f
	v_mov_b32_e32 v4, 0x22a2dc57
	v_mov_b32_e32 v11, 0xa30aab6e
	v_cmp_ngt_f32_e64 s[4:5], 0, v5
	v_rcp_f32_e32 v9, v3
	v_fma_f32 v12, -v3, v9, 1.0
	v_fmac_f32_e32 v9, v12, v9
	v_mul_f32_e32 v12, v2, v9
	v_fma_f32 v13, -v3, v12, v2
	v_fmac_f32_e32 v12, v13, v9
	v_fma_f32 v2, -v3, v12, v2
	v_div_fmas_f32 v2, v2, v9, v12
	v_mul_f32_e64 v3, |v5|, s11
	v_rndne_f32_e32 v9, v3
	v_fma_f32 v12, |v5|, s11, -v3
	v_sub_f32_e32 v3, v3, v9
	v_fma_f32 v12, |v5|, s12, v12
	v_add_f32_e32 v3, v3, v12
	v_cvt_i32_f32_e32 v9, v9
	v_exp_f32_e32 v3, v3
	s_mov_b32 s11, 0xc2ce8ed0
	s_mov_b32 s12, 0x42b17218
	v_cmp_nlt_f32_e64 vcc, |v5|, s11
	v_ldexp_f32 v3, v3, v9
	v_mov_b32_e32 v12, 0x7f800000
	v_cndmask_b32_e32 v3, 0, v3, vcc
	v_cmp_ngt_f32_e64 vcc, |v5|, s12
	v_div_fixup_f32 v2, v2, |v5|, s10
	v_add_f32_e32 v2, -2.0, v2
	v_fmac_f32_e32 v4, 0x230aab6e, v2
	v_fmac_f32_e32 v11, v2, v4
	v_add_f32_e32 v9, 0xa456751e, v11
	v_fma_f32 v4, v2, v9, -v4
	v_add_f32_e32 v4, 0xa4140365, v4
	v_fma_f32 v9, v2, v4, -v9
	;; [unrolled: 2-line block ×22, first 2 shown]
	v_add_f32_e32 v4, 0x3f4750c6, v2
	v_cndmask_b32_e32 v2, v12, v3, vcc
	v_sub_f32_e32 v3, v4, v9
	s_and_saveexec_b64 s[10:11], s[4:5]
	s_xor_b64 s[10:11], exec, s[10:11]
	s_cbranch_execz .LBB11_45
; %bb.44:
	s_mov_b32 s4, 0xf800000
	s_mov_b32 s5, 0x4f800000
	v_mul_f32_e64 v4, |v5|, s5
	v_cmp_lt_f32_e64 vcc, |v5|, s4
	v_cndmask_b32_e64 v4, |v5|, v4, vcc
	v_sqrt_f32_e32 v5, v4
	v_mul_f32_e32 v3, 0.5, v3
	v_mul_f32_e32 v2, v2, v3
	v_add_u32_e32 v3, -1, v5
	v_fma_f32 v9, -v3, v5, v4
	v_cmp_ge_f32_e64 s[4:5], 0, v9
	v_add_u32_e32 v9, 1, v5
	v_cndmask_b32_e64 v3, v5, v3, s[4:5]
	v_fma_f32 v5, -v9, v5, v4
	v_cmp_lt_f32_e64 s[4:5], 0, v5
	v_cndmask_b32_e64 v3, v3, v9, s[4:5]
	v_mul_f32_e32 v5, 0x37800000, v3
	v_cndmask_b32_e32 v3, v3, v5, vcc
	v_mov_b32_e32 v5, 0x260
	v_cmp_class_f32_e32 vcc, v4, v5
	v_cndmask_b32_e32 v3, v3, v4, vcc
	v_div_scale_f32 v4, s[4:5], v3, v3, v2
	v_div_scale_f32 v5, vcc, v2, v3, v2
	v_rcp_f32_e32 v9, v4
	v_fma_f32 v11, -v4, v9, 1.0
	v_fmac_f32_e32 v9, v11, v9
	v_mul_f32_e32 v11, v5, v9
	v_fma_f32 v12, -v4, v11, v5
	v_fmac_f32_e32 v11, v12, v9
	v_fma_f32 v4, -v4, v11, v5
	v_div_fmas_f32 v4, v4, v9, v11
	v_div_fixup_f32 v9, v4, v3, v2
                                        ; implicit-def: $vgpr2_vgpr3_vgpr4_vgpr5
                                        ; implicit-def: $vgpr3
                                        ; implicit-def: $vgpr2
.LBB11_45:
	s_andn2_saveexec_b64 s[10:11], s[10:11]
	s_cbranch_execz .LBB11_47
; %bb.46:
	s_mov_b32 s4, 0xf800000
	s_mov_b32 s5, 0x4f800000
	v_mul_f32_e64 v4, |v5|, s5
	v_cmp_lt_f32_e64 vcc, |v5|, s4
	v_cndmask_b32_e64 v4, |v5|, v4, vcc
	v_sqrt_f32_e32 v5, v4
	v_mul_f32_e32 v3, -0.5, v3
	v_mul_f32_e32 v2, v2, v3
	v_add_u32_e32 v9, -1, v5
	v_fma_f32 v11, -v9, v5, v4
	v_cmp_ge_f32_e64 s[4:5], 0, v11
	v_add_u32_e32 v11, 1, v5
	v_cndmask_b32_e64 v9, v5, v9, s[4:5]
	v_fma_f32 v5, -v11, v5, v4
	v_cmp_lt_f32_e64 s[4:5], 0, v5
	v_cndmask_b32_e64 v5, v9, v11, s[4:5]
	v_mul_f32_e32 v9, 0x37800000, v5
	v_cndmask_b32_e32 v5, v5, v9, vcc
	v_mov_b32_e32 v9, 0x260
	v_cmp_class_f32_e32 vcc, v4, v9
	v_cndmask_b32_e32 v4, v5, v4, vcc
	v_div_scale_f32 v3, s[4:5], v4, v4, v2
	v_div_scale_f32 v5, vcc, v2, v4, v2
	v_rcp_f32_e32 v9, v3
	v_fma_f32 v11, -v3, v9, 1.0
	v_fmac_f32_e32 v9, v11, v9
	v_mul_f32_e32 v11, v5, v9
	v_fma_f32 v12, -v3, v11, v5
	v_fmac_f32_e32 v11, v12, v9
	v_fma_f32 v3, -v3, v11, v5
	v_div_fmas_f32 v3, v3, v9, v11
	v_div_fixup_f32 v9, v3, v4, v2
.LBB11_47:
	s_or_b64 exec, exec, s[10:11]
.LBB11_48:
	s_or_b64 exec, exec, s[8:9]
	v_mov_b32_e32 v2, s7
	v_add_co_u32_e32 v0, vcc, s6, v0
	v_addc_co_u32_e32 v1, vcc, v1, v2, vcc
	v_add_co_u32_e32 v0, vcc, v0, v10
	v_addc_co_u32_e32 v1, vcc, 0, v1, vcc
	flat_store_dwordx4 v[0:1], v[6:9]
	s_waitcnt vmcnt(0) lgkmcnt(0)
	s_setpc_b64 s[30:31]
.Lfunc_end11:
	.size	_ZN2at6native25elementwise_kernel_helperILb0EZZZNS0_12_GLOBAL__N_130modified_bessel_i1_kernel_cudaERNS_18TensorIteratorBaseEENKUlvE_clEvENKUlvE0_clEvEUlfE_NS0_6memory8policies10vectorizedILi4ESt5arrayIPcLm2EELi4EEEEEvT0_T1_, .Lfunc_end11-_ZN2at6native25elementwise_kernel_helperILb0EZZZNS0_12_GLOBAL__N_130modified_bessel_i1_kernel_cudaERNS_18TensorIteratorBaseEENKUlvE_clEvENKUlvE0_clEvEUlfE_NS0_6memory8policies10vectorizedILi4ESt5arrayIPcLm2EELi4EEEEEvT0_T1_
                                        ; -- End function
	.set .L_ZN2at6native25elementwise_kernel_helperILb0EZZZNS0_12_GLOBAL__N_130modified_bessel_i1_kernel_cudaERNS_18TensorIteratorBaseEENKUlvE_clEvENKUlvE0_clEvEUlfE_NS0_6memory8policies10vectorizedILi4ESt5arrayIPcLm2EELi4EEEEEvT0_T1_.num_vgpr, 32
	.set .L_ZN2at6native25elementwise_kernel_helperILb0EZZZNS0_12_GLOBAL__N_130modified_bessel_i1_kernel_cudaERNS_18TensorIteratorBaseEENKUlvE_clEvENKUlvE0_clEvEUlfE_NS0_6memory8policies10vectorizedILi4ESt5arrayIPcLm2EELi4EEEEEvT0_T1_.num_agpr, 0
	.set .L_ZN2at6native25elementwise_kernel_helperILb0EZZZNS0_12_GLOBAL__N_130modified_bessel_i1_kernel_cudaERNS_18TensorIteratorBaseEENKUlvE_clEvENKUlvE0_clEvEUlfE_NS0_6memory8policies10vectorizedILi4ESt5arrayIPcLm2EELi4EEEEEvT0_T1_.numbered_sgpr, 32
	.set .L_ZN2at6native25elementwise_kernel_helperILb0EZZZNS0_12_GLOBAL__N_130modified_bessel_i1_kernel_cudaERNS_18TensorIteratorBaseEENKUlvE_clEvENKUlvE0_clEvEUlfE_NS0_6memory8policies10vectorizedILi4ESt5arrayIPcLm2EELi4EEEEEvT0_T1_.num_named_barrier, 0
	.set .L_ZN2at6native25elementwise_kernel_helperILb0EZZZNS0_12_GLOBAL__N_130modified_bessel_i1_kernel_cudaERNS_18TensorIteratorBaseEENKUlvE_clEvENKUlvE0_clEvEUlfE_NS0_6memory8policies10vectorizedILi4ESt5arrayIPcLm2EELi4EEEEEvT0_T1_.private_seg_size, 0
	.set .L_ZN2at6native25elementwise_kernel_helperILb0EZZZNS0_12_GLOBAL__N_130modified_bessel_i1_kernel_cudaERNS_18TensorIteratorBaseEENKUlvE_clEvENKUlvE0_clEvEUlfE_NS0_6memory8policies10vectorizedILi4ESt5arrayIPcLm2EELi4EEEEEvT0_T1_.uses_vcc, 1
	.set .L_ZN2at6native25elementwise_kernel_helperILb0EZZZNS0_12_GLOBAL__N_130modified_bessel_i1_kernel_cudaERNS_18TensorIteratorBaseEENKUlvE_clEvENKUlvE0_clEvEUlfE_NS0_6memory8policies10vectorizedILi4ESt5arrayIPcLm2EELi4EEEEEvT0_T1_.uses_flat_scratch, 0
	.set .L_ZN2at6native25elementwise_kernel_helperILb0EZZZNS0_12_GLOBAL__N_130modified_bessel_i1_kernel_cudaERNS_18TensorIteratorBaseEENKUlvE_clEvENKUlvE0_clEvEUlfE_NS0_6memory8policies10vectorizedILi4ESt5arrayIPcLm2EELi4EEEEEvT0_T1_.has_dyn_sized_stack, 0
	.set .L_ZN2at6native25elementwise_kernel_helperILb0EZZZNS0_12_GLOBAL__N_130modified_bessel_i1_kernel_cudaERNS_18TensorIteratorBaseEENKUlvE_clEvENKUlvE0_clEvEUlfE_NS0_6memory8policies10vectorizedILi4ESt5arrayIPcLm2EELi4EEEEEvT0_T1_.has_recursion, 0
	.set .L_ZN2at6native25elementwise_kernel_helperILb0EZZZNS0_12_GLOBAL__N_130modified_bessel_i1_kernel_cudaERNS_18TensorIteratorBaseEENKUlvE_clEvENKUlvE0_clEvEUlfE_NS0_6memory8policies10vectorizedILi4ESt5arrayIPcLm2EELi4EEEEEvT0_T1_.has_indirect_call, 0
	.section	.AMDGPU.csdata,"",@progbits
; Function info:
; codeLenInByte = 6976
; TotalNumSgprs: 36
; NumVgprs: 32
; ScratchSize: 0
; MemoryBound: 0
	.section	.text._ZN2at6native29vectorized_elementwise_kernelILi16EZZZNS0_12_GLOBAL__N_130modified_bessel_i1_kernel_cudaERNS_18TensorIteratorBaseEENKUlvE_clEvENKUlvE0_clEvEUlfE_St5arrayIPcLm2EEEEviT0_T1_,"axG",@progbits,_ZN2at6native29vectorized_elementwise_kernelILi16EZZZNS0_12_GLOBAL__N_130modified_bessel_i1_kernel_cudaERNS_18TensorIteratorBaseEENKUlvE_clEvENKUlvE0_clEvEUlfE_St5arrayIPcLm2EEEEviT0_T1_,comdat
	.globl	_ZN2at6native29vectorized_elementwise_kernelILi16EZZZNS0_12_GLOBAL__N_130modified_bessel_i1_kernel_cudaERNS_18TensorIteratorBaseEENKUlvE_clEvENKUlvE0_clEvEUlfE_St5arrayIPcLm2EEEEviT0_T1_ ; -- Begin function _ZN2at6native29vectorized_elementwise_kernelILi16EZZZNS0_12_GLOBAL__N_130modified_bessel_i1_kernel_cudaERNS_18TensorIteratorBaseEENKUlvE_clEvENKUlvE0_clEvEUlfE_St5arrayIPcLm2EEEEviT0_T1_
	.p2align	8
	.type	_ZN2at6native29vectorized_elementwise_kernelILi16EZZZNS0_12_GLOBAL__N_130modified_bessel_i1_kernel_cudaERNS_18TensorIteratorBaseEENKUlvE_clEvENKUlvE0_clEvEUlfE_St5arrayIPcLm2EEEEviT0_T1_,@function
_ZN2at6native29vectorized_elementwise_kernelILi16EZZZNS0_12_GLOBAL__N_130modified_bessel_i1_kernel_cudaERNS_18TensorIteratorBaseEENKUlvE_clEvENKUlvE0_clEvEUlfE_St5arrayIPcLm2EEEEviT0_T1_: ; @_ZN2at6native29vectorized_elementwise_kernelILi16EZZZNS0_12_GLOBAL__N_130modified_bessel_i1_kernel_cudaERNS_18TensorIteratorBaseEENKUlvE_clEvENKUlvE0_clEvEUlfE_St5arrayIPcLm2EEEEviT0_T1_
; %bb.0:
	s_mov_b32 s13, s6
	s_load_dword s6, s[4:5], 0x0
	s_load_dwordx4 s[16:19], s[4:5], 0x8
	s_add_u32 s0, s0, s7
	s_addc_u32 s1, s1, 0
	s_lshl_b32 s4, s13, 10
	s_waitcnt lgkmcnt(0)
	s_sub_i32 s14, s6, s4
	v_mov_b32_e32 v31, v0
	s_cmpk_gt_i32 s14, 0x3ff
	s_mov_b64 s[4:5], -1
	s_mov_b32 s32, 0
	s_cbranch_scc1 .LBB12_3
; %bb.1:
	s_andn2_b64 vcc, exec, s[4:5]
	s_cbranch_vccz .LBB12_4
.LBB12_2:
	s_endpgm
.LBB12_3:
	s_getpc_b64 s[4:5]
	s_add_u32 s4, s4, _ZN2at6native25elementwise_kernel_helperILb0EZZZNS0_12_GLOBAL__N_130modified_bessel_i1_kernel_cudaERNS_18TensorIteratorBaseEENKUlvE_clEvENKUlvE0_clEvEUlfE_NS0_6memory8policies10vectorizedILi4ESt5arrayIPcLm2EELi4EEEEEvT0_T1_@rel32@lo+4
	s_addc_u32 s5, s5, _ZN2at6native25elementwise_kernel_helperILb0EZZZNS0_12_GLOBAL__N_130modified_bessel_i1_kernel_cudaERNS_18TensorIteratorBaseEENKUlvE_clEvENKUlvE0_clEvEUlfE_NS0_6memory8policies10vectorizedILi4ESt5arrayIPcLm2EELi4EEEEEvT0_T1_@rel32@hi+12
	s_mov_b32 s12, s13
	v_mov_b32_e32 v0, s16
	v_mov_b32_e32 v1, s17
	;; [unrolled: 1-line block ×4, first 2 shown]
	s_swappc_b64 s[30:31], s[4:5]
	s_cbranch_execnz .LBB12_2
.LBB12_4:
	s_getpc_b64 s[4:5]
	s_add_u32 s4, s4, _ZN2at6native25elementwise_kernel_helperILb0EZZZNS0_12_GLOBAL__N_130modified_bessel_i1_kernel_cudaERNS_18TensorIteratorBaseEENKUlvE_clEvENKUlvE0_clEvEUlfE_NS0_6memory8policies11unroll_baseILi256ESt5arrayIPcLm2EE23TrivialOffsetCalculatorILi1EjESF_NS8_15LoadWithoutCastENS8_16StoreWithoutCastELi4ELi1EEEEEvT0_T1_@rel32@lo+4
	s_addc_u32 s5, s5, _ZN2at6native25elementwise_kernel_helperILb0EZZZNS0_12_GLOBAL__N_130modified_bessel_i1_kernel_cudaERNS_18TensorIteratorBaseEENKUlvE_clEvENKUlvE0_clEvEUlfE_NS0_6memory8policies11unroll_baseILi256ESt5arrayIPcLm2EE23TrivialOffsetCalculatorILi1EjESF_NS8_15LoadWithoutCastENS8_16StoreWithoutCastELi4ELi1EEEEEvT0_T1_@rel32@hi+12
	s_mov_b32 s12, s13
	v_mov_b32_e32 v0, s16
	v_mov_b32_e32 v1, s17
	;; [unrolled: 1-line block ×5, first 2 shown]
	s_swappc_b64 s[30:31], s[4:5]
	s_endpgm
	.section	.rodata,"a",@progbits
	.p2align	6, 0x0
	.amdhsa_kernel _ZN2at6native29vectorized_elementwise_kernelILi16EZZZNS0_12_GLOBAL__N_130modified_bessel_i1_kernel_cudaERNS_18TensorIteratorBaseEENKUlvE_clEvENKUlvE0_clEvEUlfE_St5arrayIPcLm2EEEEviT0_T1_
		.amdhsa_group_segment_fixed_size 0
		.amdhsa_private_segment_fixed_size 0
		.amdhsa_kernarg_size 24
		.amdhsa_user_sgpr_count 6
		.amdhsa_user_sgpr_private_segment_buffer 1
		.amdhsa_user_sgpr_dispatch_ptr 0
		.amdhsa_user_sgpr_queue_ptr 0
		.amdhsa_user_sgpr_kernarg_segment_ptr 1
		.amdhsa_user_sgpr_dispatch_id 0
		.amdhsa_user_sgpr_flat_scratch_init 0
		.amdhsa_user_sgpr_private_segment_size 0
		.amdhsa_uses_dynamic_stack 0
		.amdhsa_system_sgpr_private_segment_wavefront_offset 0
		.amdhsa_system_sgpr_workgroup_id_x 1
		.amdhsa_system_sgpr_workgroup_id_y 0
		.amdhsa_system_sgpr_workgroup_id_z 0
		.amdhsa_system_sgpr_workgroup_info 0
		.amdhsa_system_vgpr_workitem_id 0
		.amdhsa_next_free_vgpr 32
		.amdhsa_next_free_sgpr 33
		.amdhsa_reserve_vcc 1
		.amdhsa_reserve_flat_scratch 0
		.amdhsa_float_round_mode_32 0
		.amdhsa_float_round_mode_16_64 0
		.amdhsa_float_denorm_mode_32 3
		.amdhsa_float_denorm_mode_16_64 3
		.amdhsa_dx10_clamp 1
		.amdhsa_ieee_mode 1
		.amdhsa_fp16_overflow 0
		.amdhsa_exception_fp_ieee_invalid_op 0
		.amdhsa_exception_fp_denorm_src 0
		.amdhsa_exception_fp_ieee_div_zero 0
		.amdhsa_exception_fp_ieee_overflow 0
		.amdhsa_exception_fp_ieee_underflow 0
		.amdhsa_exception_fp_ieee_inexact 0
		.amdhsa_exception_int_div_zero 0
	.end_amdhsa_kernel
	.section	.text._ZN2at6native29vectorized_elementwise_kernelILi16EZZZNS0_12_GLOBAL__N_130modified_bessel_i1_kernel_cudaERNS_18TensorIteratorBaseEENKUlvE_clEvENKUlvE0_clEvEUlfE_St5arrayIPcLm2EEEEviT0_T1_,"axG",@progbits,_ZN2at6native29vectorized_elementwise_kernelILi16EZZZNS0_12_GLOBAL__N_130modified_bessel_i1_kernel_cudaERNS_18TensorIteratorBaseEENKUlvE_clEvENKUlvE0_clEvEUlfE_St5arrayIPcLm2EEEEviT0_T1_,comdat
.Lfunc_end12:
	.size	_ZN2at6native29vectorized_elementwise_kernelILi16EZZZNS0_12_GLOBAL__N_130modified_bessel_i1_kernel_cudaERNS_18TensorIteratorBaseEENKUlvE_clEvENKUlvE0_clEvEUlfE_St5arrayIPcLm2EEEEviT0_T1_, .Lfunc_end12-_ZN2at6native29vectorized_elementwise_kernelILi16EZZZNS0_12_GLOBAL__N_130modified_bessel_i1_kernel_cudaERNS_18TensorIteratorBaseEENKUlvE_clEvENKUlvE0_clEvEUlfE_St5arrayIPcLm2EEEEviT0_T1_
                                        ; -- End function
	.set _ZN2at6native29vectorized_elementwise_kernelILi16EZZZNS0_12_GLOBAL__N_130modified_bessel_i1_kernel_cudaERNS_18TensorIteratorBaseEENKUlvE_clEvENKUlvE0_clEvEUlfE_St5arrayIPcLm2EEEEviT0_T1_.num_vgpr, max(32, .L_ZN2at6native25elementwise_kernel_helperILb0EZZZNS0_12_GLOBAL__N_130modified_bessel_i1_kernel_cudaERNS_18TensorIteratorBaseEENKUlvE_clEvENKUlvE0_clEvEUlfE_NS0_6memory8policies10vectorizedILi4ESt5arrayIPcLm2EELi4EEEEEvT0_T1_.num_vgpr, .L_ZN2at6native25elementwise_kernel_helperILb0EZZZNS0_12_GLOBAL__N_130modified_bessel_i1_kernel_cudaERNS_18TensorIteratorBaseEENKUlvE_clEvENKUlvE0_clEvEUlfE_NS0_6memory8policies11unroll_baseILi256ESt5arrayIPcLm2EE23TrivialOffsetCalculatorILi1EjESF_NS8_15LoadWithoutCastENS8_16StoreWithoutCastELi4ELi1EEEEEvT0_T1_.num_vgpr)
	.set _ZN2at6native29vectorized_elementwise_kernelILi16EZZZNS0_12_GLOBAL__N_130modified_bessel_i1_kernel_cudaERNS_18TensorIteratorBaseEENKUlvE_clEvENKUlvE0_clEvEUlfE_St5arrayIPcLm2EEEEviT0_T1_.num_agpr, max(0, .L_ZN2at6native25elementwise_kernel_helperILb0EZZZNS0_12_GLOBAL__N_130modified_bessel_i1_kernel_cudaERNS_18TensorIteratorBaseEENKUlvE_clEvENKUlvE0_clEvEUlfE_NS0_6memory8policies10vectorizedILi4ESt5arrayIPcLm2EELi4EEEEEvT0_T1_.num_agpr, .L_ZN2at6native25elementwise_kernel_helperILb0EZZZNS0_12_GLOBAL__N_130modified_bessel_i1_kernel_cudaERNS_18TensorIteratorBaseEENKUlvE_clEvENKUlvE0_clEvEUlfE_NS0_6memory8policies11unroll_baseILi256ESt5arrayIPcLm2EE23TrivialOffsetCalculatorILi1EjESF_NS8_15LoadWithoutCastENS8_16StoreWithoutCastELi4ELi1EEEEEvT0_T1_.num_agpr)
	.set _ZN2at6native29vectorized_elementwise_kernelILi16EZZZNS0_12_GLOBAL__N_130modified_bessel_i1_kernel_cudaERNS_18TensorIteratorBaseEENKUlvE_clEvENKUlvE0_clEvEUlfE_St5arrayIPcLm2EEEEviT0_T1_.numbered_sgpr, max(33, .L_ZN2at6native25elementwise_kernel_helperILb0EZZZNS0_12_GLOBAL__N_130modified_bessel_i1_kernel_cudaERNS_18TensorIteratorBaseEENKUlvE_clEvENKUlvE0_clEvEUlfE_NS0_6memory8policies10vectorizedILi4ESt5arrayIPcLm2EELi4EEEEEvT0_T1_.numbered_sgpr, .L_ZN2at6native25elementwise_kernel_helperILb0EZZZNS0_12_GLOBAL__N_130modified_bessel_i1_kernel_cudaERNS_18TensorIteratorBaseEENKUlvE_clEvENKUlvE0_clEvEUlfE_NS0_6memory8policies11unroll_baseILi256ESt5arrayIPcLm2EE23TrivialOffsetCalculatorILi1EjESF_NS8_15LoadWithoutCastENS8_16StoreWithoutCastELi4ELi1EEEEEvT0_T1_.numbered_sgpr)
	.set _ZN2at6native29vectorized_elementwise_kernelILi16EZZZNS0_12_GLOBAL__N_130modified_bessel_i1_kernel_cudaERNS_18TensorIteratorBaseEENKUlvE_clEvENKUlvE0_clEvEUlfE_St5arrayIPcLm2EEEEviT0_T1_.num_named_barrier, max(0, .L_ZN2at6native25elementwise_kernel_helperILb0EZZZNS0_12_GLOBAL__N_130modified_bessel_i1_kernel_cudaERNS_18TensorIteratorBaseEENKUlvE_clEvENKUlvE0_clEvEUlfE_NS0_6memory8policies10vectorizedILi4ESt5arrayIPcLm2EELi4EEEEEvT0_T1_.num_named_barrier, .L_ZN2at6native25elementwise_kernel_helperILb0EZZZNS0_12_GLOBAL__N_130modified_bessel_i1_kernel_cudaERNS_18TensorIteratorBaseEENKUlvE_clEvENKUlvE0_clEvEUlfE_NS0_6memory8policies11unroll_baseILi256ESt5arrayIPcLm2EE23TrivialOffsetCalculatorILi1EjESF_NS8_15LoadWithoutCastENS8_16StoreWithoutCastELi4ELi1EEEEEvT0_T1_.num_named_barrier)
	.set _ZN2at6native29vectorized_elementwise_kernelILi16EZZZNS0_12_GLOBAL__N_130modified_bessel_i1_kernel_cudaERNS_18TensorIteratorBaseEENKUlvE_clEvENKUlvE0_clEvEUlfE_St5arrayIPcLm2EEEEviT0_T1_.private_seg_size, 0+max(.L_ZN2at6native25elementwise_kernel_helperILb0EZZZNS0_12_GLOBAL__N_130modified_bessel_i1_kernel_cudaERNS_18TensorIteratorBaseEENKUlvE_clEvENKUlvE0_clEvEUlfE_NS0_6memory8policies10vectorizedILi4ESt5arrayIPcLm2EELi4EEEEEvT0_T1_.private_seg_size, .L_ZN2at6native25elementwise_kernel_helperILb0EZZZNS0_12_GLOBAL__N_130modified_bessel_i1_kernel_cudaERNS_18TensorIteratorBaseEENKUlvE_clEvENKUlvE0_clEvEUlfE_NS0_6memory8policies11unroll_baseILi256ESt5arrayIPcLm2EE23TrivialOffsetCalculatorILi1EjESF_NS8_15LoadWithoutCastENS8_16StoreWithoutCastELi4ELi1EEEEEvT0_T1_.private_seg_size)
	.set _ZN2at6native29vectorized_elementwise_kernelILi16EZZZNS0_12_GLOBAL__N_130modified_bessel_i1_kernel_cudaERNS_18TensorIteratorBaseEENKUlvE_clEvENKUlvE0_clEvEUlfE_St5arrayIPcLm2EEEEviT0_T1_.uses_vcc, or(1, .L_ZN2at6native25elementwise_kernel_helperILb0EZZZNS0_12_GLOBAL__N_130modified_bessel_i1_kernel_cudaERNS_18TensorIteratorBaseEENKUlvE_clEvENKUlvE0_clEvEUlfE_NS0_6memory8policies10vectorizedILi4ESt5arrayIPcLm2EELi4EEEEEvT0_T1_.uses_vcc, .L_ZN2at6native25elementwise_kernel_helperILb0EZZZNS0_12_GLOBAL__N_130modified_bessel_i1_kernel_cudaERNS_18TensorIteratorBaseEENKUlvE_clEvENKUlvE0_clEvEUlfE_NS0_6memory8policies11unroll_baseILi256ESt5arrayIPcLm2EE23TrivialOffsetCalculatorILi1EjESF_NS8_15LoadWithoutCastENS8_16StoreWithoutCastELi4ELi1EEEEEvT0_T1_.uses_vcc)
	.set _ZN2at6native29vectorized_elementwise_kernelILi16EZZZNS0_12_GLOBAL__N_130modified_bessel_i1_kernel_cudaERNS_18TensorIteratorBaseEENKUlvE_clEvENKUlvE0_clEvEUlfE_St5arrayIPcLm2EEEEviT0_T1_.uses_flat_scratch, or(0, .L_ZN2at6native25elementwise_kernel_helperILb0EZZZNS0_12_GLOBAL__N_130modified_bessel_i1_kernel_cudaERNS_18TensorIteratorBaseEENKUlvE_clEvENKUlvE0_clEvEUlfE_NS0_6memory8policies10vectorizedILi4ESt5arrayIPcLm2EELi4EEEEEvT0_T1_.uses_flat_scratch, .L_ZN2at6native25elementwise_kernel_helperILb0EZZZNS0_12_GLOBAL__N_130modified_bessel_i1_kernel_cudaERNS_18TensorIteratorBaseEENKUlvE_clEvENKUlvE0_clEvEUlfE_NS0_6memory8policies11unroll_baseILi256ESt5arrayIPcLm2EE23TrivialOffsetCalculatorILi1EjESF_NS8_15LoadWithoutCastENS8_16StoreWithoutCastELi4ELi1EEEEEvT0_T1_.uses_flat_scratch)
	.set _ZN2at6native29vectorized_elementwise_kernelILi16EZZZNS0_12_GLOBAL__N_130modified_bessel_i1_kernel_cudaERNS_18TensorIteratorBaseEENKUlvE_clEvENKUlvE0_clEvEUlfE_St5arrayIPcLm2EEEEviT0_T1_.has_dyn_sized_stack, or(0, .L_ZN2at6native25elementwise_kernel_helperILb0EZZZNS0_12_GLOBAL__N_130modified_bessel_i1_kernel_cudaERNS_18TensorIteratorBaseEENKUlvE_clEvENKUlvE0_clEvEUlfE_NS0_6memory8policies10vectorizedILi4ESt5arrayIPcLm2EELi4EEEEEvT0_T1_.has_dyn_sized_stack, .L_ZN2at6native25elementwise_kernel_helperILb0EZZZNS0_12_GLOBAL__N_130modified_bessel_i1_kernel_cudaERNS_18TensorIteratorBaseEENKUlvE_clEvENKUlvE0_clEvEUlfE_NS0_6memory8policies11unroll_baseILi256ESt5arrayIPcLm2EE23TrivialOffsetCalculatorILi1EjESF_NS8_15LoadWithoutCastENS8_16StoreWithoutCastELi4ELi1EEEEEvT0_T1_.has_dyn_sized_stack)
	.set _ZN2at6native29vectorized_elementwise_kernelILi16EZZZNS0_12_GLOBAL__N_130modified_bessel_i1_kernel_cudaERNS_18TensorIteratorBaseEENKUlvE_clEvENKUlvE0_clEvEUlfE_St5arrayIPcLm2EEEEviT0_T1_.has_recursion, or(0, .L_ZN2at6native25elementwise_kernel_helperILb0EZZZNS0_12_GLOBAL__N_130modified_bessel_i1_kernel_cudaERNS_18TensorIteratorBaseEENKUlvE_clEvENKUlvE0_clEvEUlfE_NS0_6memory8policies10vectorizedILi4ESt5arrayIPcLm2EELi4EEEEEvT0_T1_.has_recursion, .L_ZN2at6native25elementwise_kernel_helperILb0EZZZNS0_12_GLOBAL__N_130modified_bessel_i1_kernel_cudaERNS_18TensorIteratorBaseEENKUlvE_clEvENKUlvE0_clEvEUlfE_NS0_6memory8policies11unroll_baseILi256ESt5arrayIPcLm2EE23TrivialOffsetCalculatorILi1EjESF_NS8_15LoadWithoutCastENS8_16StoreWithoutCastELi4ELi1EEEEEvT0_T1_.has_recursion)
	.set _ZN2at6native29vectorized_elementwise_kernelILi16EZZZNS0_12_GLOBAL__N_130modified_bessel_i1_kernel_cudaERNS_18TensorIteratorBaseEENKUlvE_clEvENKUlvE0_clEvEUlfE_St5arrayIPcLm2EEEEviT0_T1_.has_indirect_call, or(0, .L_ZN2at6native25elementwise_kernel_helperILb0EZZZNS0_12_GLOBAL__N_130modified_bessel_i1_kernel_cudaERNS_18TensorIteratorBaseEENKUlvE_clEvENKUlvE0_clEvEUlfE_NS0_6memory8policies10vectorizedILi4ESt5arrayIPcLm2EELi4EEEEEvT0_T1_.has_indirect_call, .L_ZN2at6native25elementwise_kernel_helperILb0EZZZNS0_12_GLOBAL__N_130modified_bessel_i1_kernel_cudaERNS_18TensorIteratorBaseEENKUlvE_clEvENKUlvE0_clEvEUlfE_NS0_6memory8policies11unroll_baseILi256ESt5arrayIPcLm2EE23TrivialOffsetCalculatorILi1EjESF_NS8_15LoadWithoutCastENS8_16StoreWithoutCastELi4ELi1EEEEEvT0_T1_.has_indirect_call)
	.section	.AMDGPU.csdata,"",@progbits
; Kernel info:
; codeLenInByte = 172
; TotalNumSgprs: 37
; NumVgprs: 32
; ScratchSize: 0
; MemoryBound: 0
; FloatMode: 240
; IeeeMode: 1
; LDSByteSize: 0 bytes/workgroup (compile time only)
; SGPRBlocks: 4
; VGPRBlocks: 7
; NumSGPRsForWavesPerEU: 37
; NumVGPRsForWavesPerEU: 32
; Occupancy: 8
; WaveLimiterHint : 0
; COMPUTE_PGM_RSRC2:SCRATCH_EN: 0
; COMPUTE_PGM_RSRC2:USER_SGPR: 6
; COMPUTE_PGM_RSRC2:TRAP_HANDLER: 0
; COMPUTE_PGM_RSRC2:TGID_X_EN: 1
; COMPUTE_PGM_RSRC2:TGID_Y_EN: 0
; COMPUTE_PGM_RSRC2:TGID_Z_EN: 0
; COMPUTE_PGM_RSRC2:TIDIG_COMP_CNT: 0
	.section	.text._ZN2at6native29vectorized_elementwise_kernelILi8EZZZNS0_12_GLOBAL__N_130modified_bessel_i1_kernel_cudaERNS_18TensorIteratorBaseEENKUlvE_clEvENKUlvE0_clEvEUlfE_St5arrayIPcLm2EEEEviT0_T1_,"axG",@progbits,_ZN2at6native29vectorized_elementwise_kernelILi8EZZZNS0_12_GLOBAL__N_130modified_bessel_i1_kernel_cudaERNS_18TensorIteratorBaseEENKUlvE_clEvENKUlvE0_clEvEUlfE_St5arrayIPcLm2EEEEviT0_T1_,comdat
	.globl	_ZN2at6native29vectorized_elementwise_kernelILi8EZZZNS0_12_GLOBAL__N_130modified_bessel_i1_kernel_cudaERNS_18TensorIteratorBaseEENKUlvE_clEvENKUlvE0_clEvEUlfE_St5arrayIPcLm2EEEEviT0_T1_ ; -- Begin function _ZN2at6native29vectorized_elementwise_kernelILi8EZZZNS0_12_GLOBAL__N_130modified_bessel_i1_kernel_cudaERNS_18TensorIteratorBaseEENKUlvE_clEvENKUlvE0_clEvEUlfE_St5arrayIPcLm2EEEEviT0_T1_
	.p2align	8
	.type	_ZN2at6native29vectorized_elementwise_kernelILi8EZZZNS0_12_GLOBAL__N_130modified_bessel_i1_kernel_cudaERNS_18TensorIteratorBaseEENKUlvE_clEvENKUlvE0_clEvEUlfE_St5arrayIPcLm2EEEEviT0_T1_,@function
_ZN2at6native29vectorized_elementwise_kernelILi8EZZZNS0_12_GLOBAL__N_130modified_bessel_i1_kernel_cudaERNS_18TensorIteratorBaseEENKUlvE_clEvENKUlvE0_clEvEUlfE_St5arrayIPcLm2EEEEviT0_T1_: ; @_ZN2at6native29vectorized_elementwise_kernelILi8EZZZNS0_12_GLOBAL__N_130modified_bessel_i1_kernel_cudaERNS_18TensorIteratorBaseEENKUlvE_clEvENKUlvE0_clEvEUlfE_St5arrayIPcLm2EEEEviT0_T1_
; %bb.0:
	s_mov_b32 s13, s6
	s_load_dword s6, s[4:5], 0x0
	s_load_dwordx4 s[16:19], s[4:5], 0x8
	s_add_u32 s0, s0, s7
	s_addc_u32 s1, s1, 0
	s_lshl_b32 s4, s13, 10
	s_waitcnt lgkmcnt(0)
	s_sub_i32 s14, s6, s4
	v_mov_b32_e32 v31, v0
	s_cmpk_gt_i32 s14, 0x3ff
	s_mov_b64 s[4:5], -1
	s_mov_b32 s32, 0
	s_cbranch_scc1 .LBB13_3
; %bb.1:
	s_andn2_b64 vcc, exec, s[4:5]
	s_cbranch_vccz .LBB13_4
.LBB13_2:
	s_endpgm
.LBB13_3:
	s_getpc_b64 s[4:5]
	s_add_u32 s4, s4, _ZN2at6native25elementwise_kernel_helperILb0EZZZNS0_12_GLOBAL__N_130modified_bessel_i1_kernel_cudaERNS_18TensorIteratorBaseEENKUlvE_clEvENKUlvE0_clEvEUlfE_NS0_6memory8policies10vectorizedILi4ESt5arrayIPcLm2EELi4EEEEEvT0_T1_@rel32@lo+4
	s_addc_u32 s5, s5, _ZN2at6native25elementwise_kernel_helperILb0EZZZNS0_12_GLOBAL__N_130modified_bessel_i1_kernel_cudaERNS_18TensorIteratorBaseEENKUlvE_clEvENKUlvE0_clEvEUlfE_NS0_6memory8policies10vectorizedILi4ESt5arrayIPcLm2EELi4EEEEEvT0_T1_@rel32@hi+12
	s_mov_b32 s12, s13
	v_mov_b32_e32 v0, s16
	v_mov_b32_e32 v1, s17
	;; [unrolled: 1-line block ×4, first 2 shown]
	s_swappc_b64 s[30:31], s[4:5]
	s_cbranch_execnz .LBB13_2
.LBB13_4:
	s_getpc_b64 s[4:5]
	s_add_u32 s4, s4, _ZN2at6native25elementwise_kernel_helperILb0EZZZNS0_12_GLOBAL__N_130modified_bessel_i1_kernel_cudaERNS_18TensorIteratorBaseEENKUlvE_clEvENKUlvE0_clEvEUlfE_NS0_6memory8policies11unroll_baseILi256ESt5arrayIPcLm2EE23TrivialOffsetCalculatorILi1EjESF_NS8_15LoadWithoutCastENS8_16StoreWithoutCastELi4ELi1EEEEEvT0_T1_@rel32@lo+4
	s_addc_u32 s5, s5, _ZN2at6native25elementwise_kernel_helperILb0EZZZNS0_12_GLOBAL__N_130modified_bessel_i1_kernel_cudaERNS_18TensorIteratorBaseEENKUlvE_clEvENKUlvE0_clEvEUlfE_NS0_6memory8policies11unroll_baseILi256ESt5arrayIPcLm2EE23TrivialOffsetCalculatorILi1EjESF_NS8_15LoadWithoutCastENS8_16StoreWithoutCastELi4ELi1EEEEEvT0_T1_@rel32@hi+12
	s_mov_b32 s12, s13
	v_mov_b32_e32 v0, s16
	v_mov_b32_e32 v1, s17
	;; [unrolled: 1-line block ×5, first 2 shown]
	s_swappc_b64 s[30:31], s[4:5]
	s_endpgm
	.section	.rodata,"a",@progbits
	.p2align	6, 0x0
	.amdhsa_kernel _ZN2at6native29vectorized_elementwise_kernelILi8EZZZNS0_12_GLOBAL__N_130modified_bessel_i1_kernel_cudaERNS_18TensorIteratorBaseEENKUlvE_clEvENKUlvE0_clEvEUlfE_St5arrayIPcLm2EEEEviT0_T1_
		.amdhsa_group_segment_fixed_size 0
		.amdhsa_private_segment_fixed_size 0
		.amdhsa_kernarg_size 24
		.amdhsa_user_sgpr_count 6
		.amdhsa_user_sgpr_private_segment_buffer 1
		.amdhsa_user_sgpr_dispatch_ptr 0
		.amdhsa_user_sgpr_queue_ptr 0
		.amdhsa_user_sgpr_kernarg_segment_ptr 1
		.amdhsa_user_sgpr_dispatch_id 0
		.amdhsa_user_sgpr_flat_scratch_init 0
		.amdhsa_user_sgpr_private_segment_size 0
		.amdhsa_uses_dynamic_stack 0
		.amdhsa_system_sgpr_private_segment_wavefront_offset 0
		.amdhsa_system_sgpr_workgroup_id_x 1
		.amdhsa_system_sgpr_workgroup_id_y 0
		.amdhsa_system_sgpr_workgroup_id_z 0
		.amdhsa_system_sgpr_workgroup_info 0
		.amdhsa_system_vgpr_workitem_id 0
		.amdhsa_next_free_vgpr 32
		.amdhsa_next_free_sgpr 33
		.amdhsa_reserve_vcc 1
		.amdhsa_reserve_flat_scratch 0
		.amdhsa_float_round_mode_32 0
		.amdhsa_float_round_mode_16_64 0
		.amdhsa_float_denorm_mode_32 3
		.amdhsa_float_denorm_mode_16_64 3
		.amdhsa_dx10_clamp 1
		.amdhsa_ieee_mode 1
		.amdhsa_fp16_overflow 0
		.amdhsa_exception_fp_ieee_invalid_op 0
		.amdhsa_exception_fp_denorm_src 0
		.amdhsa_exception_fp_ieee_div_zero 0
		.amdhsa_exception_fp_ieee_overflow 0
		.amdhsa_exception_fp_ieee_underflow 0
		.amdhsa_exception_fp_ieee_inexact 0
		.amdhsa_exception_int_div_zero 0
	.end_amdhsa_kernel
	.section	.text._ZN2at6native29vectorized_elementwise_kernelILi8EZZZNS0_12_GLOBAL__N_130modified_bessel_i1_kernel_cudaERNS_18TensorIteratorBaseEENKUlvE_clEvENKUlvE0_clEvEUlfE_St5arrayIPcLm2EEEEviT0_T1_,"axG",@progbits,_ZN2at6native29vectorized_elementwise_kernelILi8EZZZNS0_12_GLOBAL__N_130modified_bessel_i1_kernel_cudaERNS_18TensorIteratorBaseEENKUlvE_clEvENKUlvE0_clEvEUlfE_St5arrayIPcLm2EEEEviT0_T1_,comdat
.Lfunc_end13:
	.size	_ZN2at6native29vectorized_elementwise_kernelILi8EZZZNS0_12_GLOBAL__N_130modified_bessel_i1_kernel_cudaERNS_18TensorIteratorBaseEENKUlvE_clEvENKUlvE0_clEvEUlfE_St5arrayIPcLm2EEEEviT0_T1_, .Lfunc_end13-_ZN2at6native29vectorized_elementwise_kernelILi8EZZZNS0_12_GLOBAL__N_130modified_bessel_i1_kernel_cudaERNS_18TensorIteratorBaseEENKUlvE_clEvENKUlvE0_clEvEUlfE_St5arrayIPcLm2EEEEviT0_T1_
                                        ; -- End function
	.set _ZN2at6native29vectorized_elementwise_kernelILi8EZZZNS0_12_GLOBAL__N_130modified_bessel_i1_kernel_cudaERNS_18TensorIteratorBaseEENKUlvE_clEvENKUlvE0_clEvEUlfE_St5arrayIPcLm2EEEEviT0_T1_.num_vgpr, max(32, .L_ZN2at6native25elementwise_kernel_helperILb0EZZZNS0_12_GLOBAL__N_130modified_bessel_i1_kernel_cudaERNS_18TensorIteratorBaseEENKUlvE_clEvENKUlvE0_clEvEUlfE_NS0_6memory8policies10vectorizedILi4ESt5arrayIPcLm2EELi4EEEEEvT0_T1_.num_vgpr, .L_ZN2at6native25elementwise_kernel_helperILb0EZZZNS0_12_GLOBAL__N_130modified_bessel_i1_kernel_cudaERNS_18TensorIteratorBaseEENKUlvE_clEvENKUlvE0_clEvEUlfE_NS0_6memory8policies11unroll_baseILi256ESt5arrayIPcLm2EE23TrivialOffsetCalculatorILi1EjESF_NS8_15LoadWithoutCastENS8_16StoreWithoutCastELi4ELi1EEEEEvT0_T1_.num_vgpr)
	.set _ZN2at6native29vectorized_elementwise_kernelILi8EZZZNS0_12_GLOBAL__N_130modified_bessel_i1_kernel_cudaERNS_18TensorIteratorBaseEENKUlvE_clEvENKUlvE0_clEvEUlfE_St5arrayIPcLm2EEEEviT0_T1_.num_agpr, max(0, .L_ZN2at6native25elementwise_kernel_helperILb0EZZZNS0_12_GLOBAL__N_130modified_bessel_i1_kernel_cudaERNS_18TensorIteratorBaseEENKUlvE_clEvENKUlvE0_clEvEUlfE_NS0_6memory8policies10vectorizedILi4ESt5arrayIPcLm2EELi4EEEEEvT0_T1_.num_agpr, .L_ZN2at6native25elementwise_kernel_helperILb0EZZZNS0_12_GLOBAL__N_130modified_bessel_i1_kernel_cudaERNS_18TensorIteratorBaseEENKUlvE_clEvENKUlvE0_clEvEUlfE_NS0_6memory8policies11unroll_baseILi256ESt5arrayIPcLm2EE23TrivialOffsetCalculatorILi1EjESF_NS8_15LoadWithoutCastENS8_16StoreWithoutCastELi4ELi1EEEEEvT0_T1_.num_agpr)
	.set _ZN2at6native29vectorized_elementwise_kernelILi8EZZZNS0_12_GLOBAL__N_130modified_bessel_i1_kernel_cudaERNS_18TensorIteratorBaseEENKUlvE_clEvENKUlvE0_clEvEUlfE_St5arrayIPcLm2EEEEviT0_T1_.numbered_sgpr, max(33, .L_ZN2at6native25elementwise_kernel_helperILb0EZZZNS0_12_GLOBAL__N_130modified_bessel_i1_kernel_cudaERNS_18TensorIteratorBaseEENKUlvE_clEvENKUlvE0_clEvEUlfE_NS0_6memory8policies10vectorizedILi4ESt5arrayIPcLm2EELi4EEEEEvT0_T1_.numbered_sgpr, .L_ZN2at6native25elementwise_kernel_helperILb0EZZZNS0_12_GLOBAL__N_130modified_bessel_i1_kernel_cudaERNS_18TensorIteratorBaseEENKUlvE_clEvENKUlvE0_clEvEUlfE_NS0_6memory8policies11unroll_baseILi256ESt5arrayIPcLm2EE23TrivialOffsetCalculatorILi1EjESF_NS8_15LoadWithoutCastENS8_16StoreWithoutCastELi4ELi1EEEEEvT0_T1_.numbered_sgpr)
	.set _ZN2at6native29vectorized_elementwise_kernelILi8EZZZNS0_12_GLOBAL__N_130modified_bessel_i1_kernel_cudaERNS_18TensorIteratorBaseEENKUlvE_clEvENKUlvE0_clEvEUlfE_St5arrayIPcLm2EEEEviT0_T1_.num_named_barrier, max(0, .L_ZN2at6native25elementwise_kernel_helperILb0EZZZNS0_12_GLOBAL__N_130modified_bessel_i1_kernel_cudaERNS_18TensorIteratorBaseEENKUlvE_clEvENKUlvE0_clEvEUlfE_NS0_6memory8policies10vectorizedILi4ESt5arrayIPcLm2EELi4EEEEEvT0_T1_.num_named_barrier, .L_ZN2at6native25elementwise_kernel_helperILb0EZZZNS0_12_GLOBAL__N_130modified_bessel_i1_kernel_cudaERNS_18TensorIteratorBaseEENKUlvE_clEvENKUlvE0_clEvEUlfE_NS0_6memory8policies11unroll_baseILi256ESt5arrayIPcLm2EE23TrivialOffsetCalculatorILi1EjESF_NS8_15LoadWithoutCastENS8_16StoreWithoutCastELi4ELi1EEEEEvT0_T1_.num_named_barrier)
	.set _ZN2at6native29vectorized_elementwise_kernelILi8EZZZNS0_12_GLOBAL__N_130modified_bessel_i1_kernel_cudaERNS_18TensorIteratorBaseEENKUlvE_clEvENKUlvE0_clEvEUlfE_St5arrayIPcLm2EEEEviT0_T1_.private_seg_size, 0+max(.L_ZN2at6native25elementwise_kernel_helperILb0EZZZNS0_12_GLOBAL__N_130modified_bessel_i1_kernel_cudaERNS_18TensorIteratorBaseEENKUlvE_clEvENKUlvE0_clEvEUlfE_NS0_6memory8policies10vectorizedILi4ESt5arrayIPcLm2EELi4EEEEEvT0_T1_.private_seg_size, .L_ZN2at6native25elementwise_kernel_helperILb0EZZZNS0_12_GLOBAL__N_130modified_bessel_i1_kernel_cudaERNS_18TensorIteratorBaseEENKUlvE_clEvENKUlvE0_clEvEUlfE_NS0_6memory8policies11unroll_baseILi256ESt5arrayIPcLm2EE23TrivialOffsetCalculatorILi1EjESF_NS8_15LoadWithoutCastENS8_16StoreWithoutCastELi4ELi1EEEEEvT0_T1_.private_seg_size)
	.set _ZN2at6native29vectorized_elementwise_kernelILi8EZZZNS0_12_GLOBAL__N_130modified_bessel_i1_kernel_cudaERNS_18TensorIteratorBaseEENKUlvE_clEvENKUlvE0_clEvEUlfE_St5arrayIPcLm2EEEEviT0_T1_.uses_vcc, or(1, .L_ZN2at6native25elementwise_kernel_helperILb0EZZZNS0_12_GLOBAL__N_130modified_bessel_i1_kernel_cudaERNS_18TensorIteratorBaseEENKUlvE_clEvENKUlvE0_clEvEUlfE_NS0_6memory8policies10vectorizedILi4ESt5arrayIPcLm2EELi4EEEEEvT0_T1_.uses_vcc, .L_ZN2at6native25elementwise_kernel_helperILb0EZZZNS0_12_GLOBAL__N_130modified_bessel_i1_kernel_cudaERNS_18TensorIteratorBaseEENKUlvE_clEvENKUlvE0_clEvEUlfE_NS0_6memory8policies11unroll_baseILi256ESt5arrayIPcLm2EE23TrivialOffsetCalculatorILi1EjESF_NS8_15LoadWithoutCastENS8_16StoreWithoutCastELi4ELi1EEEEEvT0_T1_.uses_vcc)
	.set _ZN2at6native29vectorized_elementwise_kernelILi8EZZZNS0_12_GLOBAL__N_130modified_bessel_i1_kernel_cudaERNS_18TensorIteratorBaseEENKUlvE_clEvENKUlvE0_clEvEUlfE_St5arrayIPcLm2EEEEviT0_T1_.uses_flat_scratch, or(0, .L_ZN2at6native25elementwise_kernel_helperILb0EZZZNS0_12_GLOBAL__N_130modified_bessel_i1_kernel_cudaERNS_18TensorIteratorBaseEENKUlvE_clEvENKUlvE0_clEvEUlfE_NS0_6memory8policies10vectorizedILi4ESt5arrayIPcLm2EELi4EEEEEvT0_T1_.uses_flat_scratch, .L_ZN2at6native25elementwise_kernel_helperILb0EZZZNS0_12_GLOBAL__N_130modified_bessel_i1_kernel_cudaERNS_18TensorIteratorBaseEENKUlvE_clEvENKUlvE0_clEvEUlfE_NS0_6memory8policies11unroll_baseILi256ESt5arrayIPcLm2EE23TrivialOffsetCalculatorILi1EjESF_NS8_15LoadWithoutCastENS8_16StoreWithoutCastELi4ELi1EEEEEvT0_T1_.uses_flat_scratch)
	.set _ZN2at6native29vectorized_elementwise_kernelILi8EZZZNS0_12_GLOBAL__N_130modified_bessel_i1_kernel_cudaERNS_18TensorIteratorBaseEENKUlvE_clEvENKUlvE0_clEvEUlfE_St5arrayIPcLm2EEEEviT0_T1_.has_dyn_sized_stack, or(0, .L_ZN2at6native25elementwise_kernel_helperILb0EZZZNS0_12_GLOBAL__N_130modified_bessel_i1_kernel_cudaERNS_18TensorIteratorBaseEENKUlvE_clEvENKUlvE0_clEvEUlfE_NS0_6memory8policies10vectorizedILi4ESt5arrayIPcLm2EELi4EEEEEvT0_T1_.has_dyn_sized_stack, .L_ZN2at6native25elementwise_kernel_helperILb0EZZZNS0_12_GLOBAL__N_130modified_bessel_i1_kernel_cudaERNS_18TensorIteratorBaseEENKUlvE_clEvENKUlvE0_clEvEUlfE_NS0_6memory8policies11unroll_baseILi256ESt5arrayIPcLm2EE23TrivialOffsetCalculatorILi1EjESF_NS8_15LoadWithoutCastENS8_16StoreWithoutCastELi4ELi1EEEEEvT0_T1_.has_dyn_sized_stack)
	.set _ZN2at6native29vectorized_elementwise_kernelILi8EZZZNS0_12_GLOBAL__N_130modified_bessel_i1_kernel_cudaERNS_18TensorIteratorBaseEENKUlvE_clEvENKUlvE0_clEvEUlfE_St5arrayIPcLm2EEEEviT0_T1_.has_recursion, or(0, .L_ZN2at6native25elementwise_kernel_helperILb0EZZZNS0_12_GLOBAL__N_130modified_bessel_i1_kernel_cudaERNS_18TensorIteratorBaseEENKUlvE_clEvENKUlvE0_clEvEUlfE_NS0_6memory8policies10vectorizedILi4ESt5arrayIPcLm2EELi4EEEEEvT0_T1_.has_recursion, .L_ZN2at6native25elementwise_kernel_helperILb0EZZZNS0_12_GLOBAL__N_130modified_bessel_i1_kernel_cudaERNS_18TensorIteratorBaseEENKUlvE_clEvENKUlvE0_clEvEUlfE_NS0_6memory8policies11unroll_baseILi256ESt5arrayIPcLm2EE23TrivialOffsetCalculatorILi1EjESF_NS8_15LoadWithoutCastENS8_16StoreWithoutCastELi4ELi1EEEEEvT0_T1_.has_recursion)
	.set _ZN2at6native29vectorized_elementwise_kernelILi8EZZZNS0_12_GLOBAL__N_130modified_bessel_i1_kernel_cudaERNS_18TensorIteratorBaseEENKUlvE_clEvENKUlvE0_clEvEUlfE_St5arrayIPcLm2EEEEviT0_T1_.has_indirect_call, or(0, .L_ZN2at6native25elementwise_kernel_helperILb0EZZZNS0_12_GLOBAL__N_130modified_bessel_i1_kernel_cudaERNS_18TensorIteratorBaseEENKUlvE_clEvENKUlvE0_clEvEUlfE_NS0_6memory8policies10vectorizedILi4ESt5arrayIPcLm2EELi4EEEEEvT0_T1_.has_indirect_call, .L_ZN2at6native25elementwise_kernel_helperILb0EZZZNS0_12_GLOBAL__N_130modified_bessel_i1_kernel_cudaERNS_18TensorIteratorBaseEENKUlvE_clEvENKUlvE0_clEvEUlfE_NS0_6memory8policies11unroll_baseILi256ESt5arrayIPcLm2EE23TrivialOffsetCalculatorILi1EjESF_NS8_15LoadWithoutCastENS8_16StoreWithoutCastELi4ELi1EEEEEvT0_T1_.has_indirect_call)
	.section	.AMDGPU.csdata,"",@progbits
; Kernel info:
; codeLenInByte = 172
; TotalNumSgprs: 37
; NumVgprs: 32
; ScratchSize: 0
; MemoryBound: 0
; FloatMode: 240
; IeeeMode: 1
; LDSByteSize: 0 bytes/workgroup (compile time only)
; SGPRBlocks: 4
; VGPRBlocks: 7
; NumSGPRsForWavesPerEU: 37
; NumVGPRsForWavesPerEU: 32
; Occupancy: 8
; WaveLimiterHint : 0
; COMPUTE_PGM_RSRC2:SCRATCH_EN: 0
; COMPUTE_PGM_RSRC2:USER_SGPR: 6
; COMPUTE_PGM_RSRC2:TRAP_HANDLER: 0
; COMPUTE_PGM_RSRC2:TGID_X_EN: 1
; COMPUTE_PGM_RSRC2:TGID_Y_EN: 0
; COMPUTE_PGM_RSRC2:TGID_Z_EN: 0
; COMPUTE_PGM_RSRC2:TIDIG_COMP_CNT: 0
	.section	.text._ZN2at6native29vectorized_elementwise_kernelILi4EZZZNS0_12_GLOBAL__N_130modified_bessel_i1_kernel_cudaERNS_18TensorIteratorBaseEENKUlvE_clEvENKUlvE0_clEvEUlfE_St5arrayIPcLm2EEEEviT0_T1_,"axG",@progbits,_ZN2at6native29vectorized_elementwise_kernelILi4EZZZNS0_12_GLOBAL__N_130modified_bessel_i1_kernel_cudaERNS_18TensorIteratorBaseEENKUlvE_clEvENKUlvE0_clEvEUlfE_St5arrayIPcLm2EEEEviT0_T1_,comdat
	.globl	_ZN2at6native29vectorized_elementwise_kernelILi4EZZZNS0_12_GLOBAL__N_130modified_bessel_i1_kernel_cudaERNS_18TensorIteratorBaseEENKUlvE_clEvENKUlvE0_clEvEUlfE_St5arrayIPcLm2EEEEviT0_T1_ ; -- Begin function _ZN2at6native29vectorized_elementwise_kernelILi4EZZZNS0_12_GLOBAL__N_130modified_bessel_i1_kernel_cudaERNS_18TensorIteratorBaseEENKUlvE_clEvENKUlvE0_clEvEUlfE_St5arrayIPcLm2EEEEviT0_T1_
	.p2align	8
	.type	_ZN2at6native29vectorized_elementwise_kernelILi4EZZZNS0_12_GLOBAL__N_130modified_bessel_i1_kernel_cudaERNS_18TensorIteratorBaseEENKUlvE_clEvENKUlvE0_clEvEUlfE_St5arrayIPcLm2EEEEviT0_T1_,@function
_ZN2at6native29vectorized_elementwise_kernelILi4EZZZNS0_12_GLOBAL__N_130modified_bessel_i1_kernel_cudaERNS_18TensorIteratorBaseEENKUlvE_clEvENKUlvE0_clEvEUlfE_St5arrayIPcLm2EEEEviT0_T1_: ; @_ZN2at6native29vectorized_elementwise_kernelILi4EZZZNS0_12_GLOBAL__N_130modified_bessel_i1_kernel_cudaERNS_18TensorIteratorBaseEENKUlvE_clEvENKUlvE0_clEvEUlfE_St5arrayIPcLm2EEEEviT0_T1_
; %bb.0:
	s_mov_b32 s13, s6
	s_load_dword s6, s[4:5], 0x0
	s_load_dwordx4 s[16:19], s[4:5], 0x8
	s_add_u32 s0, s0, s7
	s_addc_u32 s1, s1, 0
	s_lshl_b32 s4, s13, 10
	s_waitcnt lgkmcnt(0)
	s_sub_i32 s14, s6, s4
	v_mov_b32_e32 v31, v0
	s_cmpk_gt_i32 s14, 0x3ff
	s_mov_b64 s[4:5], -1
	s_mov_b32 s32, 0
	s_cbranch_scc1 .LBB14_3
; %bb.1:
	s_andn2_b64 vcc, exec, s[4:5]
	s_cbranch_vccz .LBB14_4
.LBB14_2:
	s_endpgm
.LBB14_3:
	s_getpc_b64 s[4:5]
	s_add_u32 s4, s4, _ZN2at6native25elementwise_kernel_helperILb0EZZZNS0_12_GLOBAL__N_130modified_bessel_i1_kernel_cudaERNS_18TensorIteratorBaseEENKUlvE_clEvENKUlvE0_clEvEUlfE_NS0_6memory8policies10vectorizedILi4ESt5arrayIPcLm2EELi4EEEEEvT0_T1_@rel32@lo+4
	s_addc_u32 s5, s5, _ZN2at6native25elementwise_kernel_helperILb0EZZZNS0_12_GLOBAL__N_130modified_bessel_i1_kernel_cudaERNS_18TensorIteratorBaseEENKUlvE_clEvENKUlvE0_clEvEUlfE_NS0_6memory8policies10vectorizedILi4ESt5arrayIPcLm2EELi4EEEEEvT0_T1_@rel32@hi+12
	s_mov_b32 s12, s13
	v_mov_b32_e32 v0, s16
	v_mov_b32_e32 v1, s17
	;; [unrolled: 1-line block ×4, first 2 shown]
	s_swappc_b64 s[30:31], s[4:5]
	s_cbranch_execnz .LBB14_2
.LBB14_4:
	s_getpc_b64 s[4:5]
	s_add_u32 s4, s4, _ZN2at6native25elementwise_kernel_helperILb0EZZZNS0_12_GLOBAL__N_130modified_bessel_i1_kernel_cudaERNS_18TensorIteratorBaseEENKUlvE_clEvENKUlvE0_clEvEUlfE_NS0_6memory8policies11unroll_baseILi256ESt5arrayIPcLm2EE23TrivialOffsetCalculatorILi1EjESF_NS8_15LoadWithoutCastENS8_16StoreWithoutCastELi4ELi1EEEEEvT0_T1_@rel32@lo+4
	s_addc_u32 s5, s5, _ZN2at6native25elementwise_kernel_helperILb0EZZZNS0_12_GLOBAL__N_130modified_bessel_i1_kernel_cudaERNS_18TensorIteratorBaseEENKUlvE_clEvENKUlvE0_clEvEUlfE_NS0_6memory8policies11unroll_baseILi256ESt5arrayIPcLm2EE23TrivialOffsetCalculatorILi1EjESF_NS8_15LoadWithoutCastENS8_16StoreWithoutCastELi4ELi1EEEEEvT0_T1_@rel32@hi+12
	s_mov_b32 s12, s13
	v_mov_b32_e32 v0, s16
	v_mov_b32_e32 v1, s17
	;; [unrolled: 1-line block ×5, first 2 shown]
	s_swappc_b64 s[30:31], s[4:5]
	s_endpgm
	.section	.rodata,"a",@progbits
	.p2align	6, 0x0
	.amdhsa_kernel _ZN2at6native29vectorized_elementwise_kernelILi4EZZZNS0_12_GLOBAL__N_130modified_bessel_i1_kernel_cudaERNS_18TensorIteratorBaseEENKUlvE_clEvENKUlvE0_clEvEUlfE_St5arrayIPcLm2EEEEviT0_T1_
		.amdhsa_group_segment_fixed_size 0
		.amdhsa_private_segment_fixed_size 0
		.amdhsa_kernarg_size 24
		.amdhsa_user_sgpr_count 6
		.amdhsa_user_sgpr_private_segment_buffer 1
		.amdhsa_user_sgpr_dispatch_ptr 0
		.amdhsa_user_sgpr_queue_ptr 0
		.amdhsa_user_sgpr_kernarg_segment_ptr 1
		.amdhsa_user_sgpr_dispatch_id 0
		.amdhsa_user_sgpr_flat_scratch_init 0
		.amdhsa_user_sgpr_private_segment_size 0
		.amdhsa_uses_dynamic_stack 0
		.amdhsa_system_sgpr_private_segment_wavefront_offset 0
		.amdhsa_system_sgpr_workgroup_id_x 1
		.amdhsa_system_sgpr_workgroup_id_y 0
		.amdhsa_system_sgpr_workgroup_id_z 0
		.amdhsa_system_sgpr_workgroup_info 0
		.amdhsa_system_vgpr_workitem_id 0
		.amdhsa_next_free_vgpr 32
		.amdhsa_next_free_sgpr 33
		.amdhsa_reserve_vcc 1
		.amdhsa_reserve_flat_scratch 0
		.amdhsa_float_round_mode_32 0
		.amdhsa_float_round_mode_16_64 0
		.amdhsa_float_denorm_mode_32 3
		.amdhsa_float_denorm_mode_16_64 3
		.amdhsa_dx10_clamp 1
		.amdhsa_ieee_mode 1
		.amdhsa_fp16_overflow 0
		.amdhsa_exception_fp_ieee_invalid_op 0
		.amdhsa_exception_fp_denorm_src 0
		.amdhsa_exception_fp_ieee_div_zero 0
		.amdhsa_exception_fp_ieee_overflow 0
		.amdhsa_exception_fp_ieee_underflow 0
		.amdhsa_exception_fp_ieee_inexact 0
		.amdhsa_exception_int_div_zero 0
	.end_amdhsa_kernel
	.section	.text._ZN2at6native29vectorized_elementwise_kernelILi4EZZZNS0_12_GLOBAL__N_130modified_bessel_i1_kernel_cudaERNS_18TensorIteratorBaseEENKUlvE_clEvENKUlvE0_clEvEUlfE_St5arrayIPcLm2EEEEviT0_T1_,"axG",@progbits,_ZN2at6native29vectorized_elementwise_kernelILi4EZZZNS0_12_GLOBAL__N_130modified_bessel_i1_kernel_cudaERNS_18TensorIteratorBaseEENKUlvE_clEvENKUlvE0_clEvEUlfE_St5arrayIPcLm2EEEEviT0_T1_,comdat
.Lfunc_end14:
	.size	_ZN2at6native29vectorized_elementwise_kernelILi4EZZZNS0_12_GLOBAL__N_130modified_bessel_i1_kernel_cudaERNS_18TensorIteratorBaseEENKUlvE_clEvENKUlvE0_clEvEUlfE_St5arrayIPcLm2EEEEviT0_T1_, .Lfunc_end14-_ZN2at6native29vectorized_elementwise_kernelILi4EZZZNS0_12_GLOBAL__N_130modified_bessel_i1_kernel_cudaERNS_18TensorIteratorBaseEENKUlvE_clEvENKUlvE0_clEvEUlfE_St5arrayIPcLm2EEEEviT0_T1_
                                        ; -- End function
	.set _ZN2at6native29vectorized_elementwise_kernelILi4EZZZNS0_12_GLOBAL__N_130modified_bessel_i1_kernel_cudaERNS_18TensorIteratorBaseEENKUlvE_clEvENKUlvE0_clEvEUlfE_St5arrayIPcLm2EEEEviT0_T1_.num_vgpr, max(32, .L_ZN2at6native25elementwise_kernel_helperILb0EZZZNS0_12_GLOBAL__N_130modified_bessel_i1_kernel_cudaERNS_18TensorIteratorBaseEENKUlvE_clEvENKUlvE0_clEvEUlfE_NS0_6memory8policies10vectorizedILi4ESt5arrayIPcLm2EELi4EEEEEvT0_T1_.num_vgpr, .L_ZN2at6native25elementwise_kernel_helperILb0EZZZNS0_12_GLOBAL__N_130modified_bessel_i1_kernel_cudaERNS_18TensorIteratorBaseEENKUlvE_clEvENKUlvE0_clEvEUlfE_NS0_6memory8policies11unroll_baseILi256ESt5arrayIPcLm2EE23TrivialOffsetCalculatorILi1EjESF_NS8_15LoadWithoutCastENS8_16StoreWithoutCastELi4ELi1EEEEEvT0_T1_.num_vgpr)
	.set _ZN2at6native29vectorized_elementwise_kernelILi4EZZZNS0_12_GLOBAL__N_130modified_bessel_i1_kernel_cudaERNS_18TensorIteratorBaseEENKUlvE_clEvENKUlvE0_clEvEUlfE_St5arrayIPcLm2EEEEviT0_T1_.num_agpr, max(0, .L_ZN2at6native25elementwise_kernel_helperILb0EZZZNS0_12_GLOBAL__N_130modified_bessel_i1_kernel_cudaERNS_18TensorIteratorBaseEENKUlvE_clEvENKUlvE0_clEvEUlfE_NS0_6memory8policies10vectorizedILi4ESt5arrayIPcLm2EELi4EEEEEvT0_T1_.num_agpr, .L_ZN2at6native25elementwise_kernel_helperILb0EZZZNS0_12_GLOBAL__N_130modified_bessel_i1_kernel_cudaERNS_18TensorIteratorBaseEENKUlvE_clEvENKUlvE0_clEvEUlfE_NS0_6memory8policies11unroll_baseILi256ESt5arrayIPcLm2EE23TrivialOffsetCalculatorILi1EjESF_NS8_15LoadWithoutCastENS8_16StoreWithoutCastELi4ELi1EEEEEvT0_T1_.num_agpr)
	.set _ZN2at6native29vectorized_elementwise_kernelILi4EZZZNS0_12_GLOBAL__N_130modified_bessel_i1_kernel_cudaERNS_18TensorIteratorBaseEENKUlvE_clEvENKUlvE0_clEvEUlfE_St5arrayIPcLm2EEEEviT0_T1_.numbered_sgpr, max(33, .L_ZN2at6native25elementwise_kernel_helperILb0EZZZNS0_12_GLOBAL__N_130modified_bessel_i1_kernel_cudaERNS_18TensorIteratorBaseEENKUlvE_clEvENKUlvE0_clEvEUlfE_NS0_6memory8policies10vectorizedILi4ESt5arrayIPcLm2EELi4EEEEEvT0_T1_.numbered_sgpr, .L_ZN2at6native25elementwise_kernel_helperILb0EZZZNS0_12_GLOBAL__N_130modified_bessel_i1_kernel_cudaERNS_18TensorIteratorBaseEENKUlvE_clEvENKUlvE0_clEvEUlfE_NS0_6memory8policies11unroll_baseILi256ESt5arrayIPcLm2EE23TrivialOffsetCalculatorILi1EjESF_NS8_15LoadWithoutCastENS8_16StoreWithoutCastELi4ELi1EEEEEvT0_T1_.numbered_sgpr)
	.set _ZN2at6native29vectorized_elementwise_kernelILi4EZZZNS0_12_GLOBAL__N_130modified_bessel_i1_kernel_cudaERNS_18TensorIteratorBaseEENKUlvE_clEvENKUlvE0_clEvEUlfE_St5arrayIPcLm2EEEEviT0_T1_.num_named_barrier, max(0, .L_ZN2at6native25elementwise_kernel_helperILb0EZZZNS0_12_GLOBAL__N_130modified_bessel_i1_kernel_cudaERNS_18TensorIteratorBaseEENKUlvE_clEvENKUlvE0_clEvEUlfE_NS0_6memory8policies10vectorizedILi4ESt5arrayIPcLm2EELi4EEEEEvT0_T1_.num_named_barrier, .L_ZN2at6native25elementwise_kernel_helperILb0EZZZNS0_12_GLOBAL__N_130modified_bessel_i1_kernel_cudaERNS_18TensorIteratorBaseEENKUlvE_clEvENKUlvE0_clEvEUlfE_NS0_6memory8policies11unroll_baseILi256ESt5arrayIPcLm2EE23TrivialOffsetCalculatorILi1EjESF_NS8_15LoadWithoutCastENS8_16StoreWithoutCastELi4ELi1EEEEEvT0_T1_.num_named_barrier)
	.set _ZN2at6native29vectorized_elementwise_kernelILi4EZZZNS0_12_GLOBAL__N_130modified_bessel_i1_kernel_cudaERNS_18TensorIteratorBaseEENKUlvE_clEvENKUlvE0_clEvEUlfE_St5arrayIPcLm2EEEEviT0_T1_.private_seg_size, 0+max(.L_ZN2at6native25elementwise_kernel_helperILb0EZZZNS0_12_GLOBAL__N_130modified_bessel_i1_kernel_cudaERNS_18TensorIteratorBaseEENKUlvE_clEvENKUlvE0_clEvEUlfE_NS0_6memory8policies10vectorizedILi4ESt5arrayIPcLm2EELi4EEEEEvT0_T1_.private_seg_size, .L_ZN2at6native25elementwise_kernel_helperILb0EZZZNS0_12_GLOBAL__N_130modified_bessel_i1_kernel_cudaERNS_18TensorIteratorBaseEENKUlvE_clEvENKUlvE0_clEvEUlfE_NS0_6memory8policies11unroll_baseILi256ESt5arrayIPcLm2EE23TrivialOffsetCalculatorILi1EjESF_NS8_15LoadWithoutCastENS8_16StoreWithoutCastELi4ELi1EEEEEvT0_T1_.private_seg_size)
	.set _ZN2at6native29vectorized_elementwise_kernelILi4EZZZNS0_12_GLOBAL__N_130modified_bessel_i1_kernel_cudaERNS_18TensorIteratorBaseEENKUlvE_clEvENKUlvE0_clEvEUlfE_St5arrayIPcLm2EEEEviT0_T1_.uses_vcc, or(1, .L_ZN2at6native25elementwise_kernel_helperILb0EZZZNS0_12_GLOBAL__N_130modified_bessel_i1_kernel_cudaERNS_18TensorIteratorBaseEENKUlvE_clEvENKUlvE0_clEvEUlfE_NS0_6memory8policies10vectorizedILi4ESt5arrayIPcLm2EELi4EEEEEvT0_T1_.uses_vcc, .L_ZN2at6native25elementwise_kernel_helperILb0EZZZNS0_12_GLOBAL__N_130modified_bessel_i1_kernel_cudaERNS_18TensorIteratorBaseEENKUlvE_clEvENKUlvE0_clEvEUlfE_NS0_6memory8policies11unroll_baseILi256ESt5arrayIPcLm2EE23TrivialOffsetCalculatorILi1EjESF_NS8_15LoadWithoutCastENS8_16StoreWithoutCastELi4ELi1EEEEEvT0_T1_.uses_vcc)
	.set _ZN2at6native29vectorized_elementwise_kernelILi4EZZZNS0_12_GLOBAL__N_130modified_bessel_i1_kernel_cudaERNS_18TensorIteratorBaseEENKUlvE_clEvENKUlvE0_clEvEUlfE_St5arrayIPcLm2EEEEviT0_T1_.uses_flat_scratch, or(0, .L_ZN2at6native25elementwise_kernel_helperILb0EZZZNS0_12_GLOBAL__N_130modified_bessel_i1_kernel_cudaERNS_18TensorIteratorBaseEENKUlvE_clEvENKUlvE0_clEvEUlfE_NS0_6memory8policies10vectorizedILi4ESt5arrayIPcLm2EELi4EEEEEvT0_T1_.uses_flat_scratch, .L_ZN2at6native25elementwise_kernel_helperILb0EZZZNS0_12_GLOBAL__N_130modified_bessel_i1_kernel_cudaERNS_18TensorIteratorBaseEENKUlvE_clEvENKUlvE0_clEvEUlfE_NS0_6memory8policies11unroll_baseILi256ESt5arrayIPcLm2EE23TrivialOffsetCalculatorILi1EjESF_NS8_15LoadWithoutCastENS8_16StoreWithoutCastELi4ELi1EEEEEvT0_T1_.uses_flat_scratch)
	.set _ZN2at6native29vectorized_elementwise_kernelILi4EZZZNS0_12_GLOBAL__N_130modified_bessel_i1_kernel_cudaERNS_18TensorIteratorBaseEENKUlvE_clEvENKUlvE0_clEvEUlfE_St5arrayIPcLm2EEEEviT0_T1_.has_dyn_sized_stack, or(0, .L_ZN2at6native25elementwise_kernel_helperILb0EZZZNS0_12_GLOBAL__N_130modified_bessel_i1_kernel_cudaERNS_18TensorIteratorBaseEENKUlvE_clEvENKUlvE0_clEvEUlfE_NS0_6memory8policies10vectorizedILi4ESt5arrayIPcLm2EELi4EEEEEvT0_T1_.has_dyn_sized_stack, .L_ZN2at6native25elementwise_kernel_helperILb0EZZZNS0_12_GLOBAL__N_130modified_bessel_i1_kernel_cudaERNS_18TensorIteratorBaseEENKUlvE_clEvENKUlvE0_clEvEUlfE_NS0_6memory8policies11unroll_baseILi256ESt5arrayIPcLm2EE23TrivialOffsetCalculatorILi1EjESF_NS8_15LoadWithoutCastENS8_16StoreWithoutCastELi4ELi1EEEEEvT0_T1_.has_dyn_sized_stack)
	.set _ZN2at6native29vectorized_elementwise_kernelILi4EZZZNS0_12_GLOBAL__N_130modified_bessel_i1_kernel_cudaERNS_18TensorIteratorBaseEENKUlvE_clEvENKUlvE0_clEvEUlfE_St5arrayIPcLm2EEEEviT0_T1_.has_recursion, or(0, .L_ZN2at6native25elementwise_kernel_helperILb0EZZZNS0_12_GLOBAL__N_130modified_bessel_i1_kernel_cudaERNS_18TensorIteratorBaseEENKUlvE_clEvENKUlvE0_clEvEUlfE_NS0_6memory8policies10vectorizedILi4ESt5arrayIPcLm2EELi4EEEEEvT0_T1_.has_recursion, .L_ZN2at6native25elementwise_kernel_helperILb0EZZZNS0_12_GLOBAL__N_130modified_bessel_i1_kernel_cudaERNS_18TensorIteratorBaseEENKUlvE_clEvENKUlvE0_clEvEUlfE_NS0_6memory8policies11unroll_baseILi256ESt5arrayIPcLm2EE23TrivialOffsetCalculatorILi1EjESF_NS8_15LoadWithoutCastENS8_16StoreWithoutCastELi4ELi1EEEEEvT0_T1_.has_recursion)
	.set _ZN2at6native29vectorized_elementwise_kernelILi4EZZZNS0_12_GLOBAL__N_130modified_bessel_i1_kernel_cudaERNS_18TensorIteratorBaseEENKUlvE_clEvENKUlvE0_clEvEUlfE_St5arrayIPcLm2EEEEviT0_T1_.has_indirect_call, or(0, .L_ZN2at6native25elementwise_kernel_helperILb0EZZZNS0_12_GLOBAL__N_130modified_bessel_i1_kernel_cudaERNS_18TensorIteratorBaseEENKUlvE_clEvENKUlvE0_clEvEUlfE_NS0_6memory8policies10vectorizedILi4ESt5arrayIPcLm2EELi4EEEEEvT0_T1_.has_indirect_call, .L_ZN2at6native25elementwise_kernel_helperILb0EZZZNS0_12_GLOBAL__N_130modified_bessel_i1_kernel_cudaERNS_18TensorIteratorBaseEENKUlvE_clEvENKUlvE0_clEvEUlfE_NS0_6memory8policies11unroll_baseILi256ESt5arrayIPcLm2EE23TrivialOffsetCalculatorILi1EjESF_NS8_15LoadWithoutCastENS8_16StoreWithoutCastELi4ELi1EEEEEvT0_T1_.has_indirect_call)
	.section	.AMDGPU.csdata,"",@progbits
; Kernel info:
; codeLenInByte = 172
; TotalNumSgprs: 37
; NumVgprs: 32
; ScratchSize: 0
; MemoryBound: 0
; FloatMode: 240
; IeeeMode: 1
; LDSByteSize: 0 bytes/workgroup (compile time only)
; SGPRBlocks: 4
; VGPRBlocks: 7
; NumSGPRsForWavesPerEU: 37
; NumVGPRsForWavesPerEU: 32
; Occupancy: 8
; WaveLimiterHint : 0
; COMPUTE_PGM_RSRC2:SCRATCH_EN: 0
; COMPUTE_PGM_RSRC2:USER_SGPR: 6
; COMPUTE_PGM_RSRC2:TRAP_HANDLER: 0
; COMPUTE_PGM_RSRC2:TGID_X_EN: 1
; COMPUTE_PGM_RSRC2:TGID_Y_EN: 0
; COMPUTE_PGM_RSRC2:TGID_Z_EN: 0
; COMPUTE_PGM_RSRC2:TIDIG_COMP_CNT: 0
	.section	.text._ZN2at6native29vectorized_elementwise_kernelILi2EZZZNS0_12_GLOBAL__N_130modified_bessel_i1_kernel_cudaERNS_18TensorIteratorBaseEENKUlvE_clEvENKUlvE0_clEvEUlfE_St5arrayIPcLm2EEEEviT0_T1_,"axG",@progbits,_ZN2at6native29vectorized_elementwise_kernelILi2EZZZNS0_12_GLOBAL__N_130modified_bessel_i1_kernel_cudaERNS_18TensorIteratorBaseEENKUlvE_clEvENKUlvE0_clEvEUlfE_St5arrayIPcLm2EEEEviT0_T1_,comdat
	.globl	_ZN2at6native29vectorized_elementwise_kernelILi2EZZZNS0_12_GLOBAL__N_130modified_bessel_i1_kernel_cudaERNS_18TensorIteratorBaseEENKUlvE_clEvENKUlvE0_clEvEUlfE_St5arrayIPcLm2EEEEviT0_T1_ ; -- Begin function _ZN2at6native29vectorized_elementwise_kernelILi2EZZZNS0_12_GLOBAL__N_130modified_bessel_i1_kernel_cudaERNS_18TensorIteratorBaseEENKUlvE_clEvENKUlvE0_clEvEUlfE_St5arrayIPcLm2EEEEviT0_T1_
	.p2align	8
	.type	_ZN2at6native29vectorized_elementwise_kernelILi2EZZZNS0_12_GLOBAL__N_130modified_bessel_i1_kernel_cudaERNS_18TensorIteratorBaseEENKUlvE_clEvENKUlvE0_clEvEUlfE_St5arrayIPcLm2EEEEviT0_T1_,@function
_ZN2at6native29vectorized_elementwise_kernelILi2EZZZNS0_12_GLOBAL__N_130modified_bessel_i1_kernel_cudaERNS_18TensorIteratorBaseEENKUlvE_clEvENKUlvE0_clEvEUlfE_St5arrayIPcLm2EEEEviT0_T1_: ; @_ZN2at6native29vectorized_elementwise_kernelILi2EZZZNS0_12_GLOBAL__N_130modified_bessel_i1_kernel_cudaERNS_18TensorIteratorBaseEENKUlvE_clEvENKUlvE0_clEvEUlfE_St5arrayIPcLm2EEEEviT0_T1_
; %bb.0:
	s_add_u32 s0, s0, s7
	s_load_dword s7, s[4:5], 0x0
	s_load_dwordx4 s[8:11], s[4:5], 0x8
	s_addc_u32 s1, s1, 0
	s_lshl_b32 s4, s6, 10
	s_mov_b64 s[12:13], -1
	s_waitcnt lgkmcnt(0)
	s_sub_i32 s7, s7, s4
	s_cmpk_gt_i32 s7, 0x3ff
	s_mov_b32 s32, 0
	s_cbranch_scc1 .LBB15_3
; %bb.1:
	s_and_b64 vcc, exec, s[12:13]
	s_cbranch_vccnz .LBB15_52
.LBB15_2:
	s_endpgm
.LBB15_3:
	s_ashr_i32 s5, s4, 31
	s_lshl_b64 s[12:13], s[4:5], 2
	s_add_u32 s4, s10, s12
	s_addc_u32 s5, s11, s13
	v_lshlrev_b32_e32 v7, 3, v0
	global_load_dwordx2 v[5:6], v7, s[4:5]
	global_load_dwordx2 v[1:2], v7, s[4:5] offset:2048
	s_mov_b32 s4, 0x41000000
                                        ; implicit-def: $vgpr3
	s_waitcnt vmcnt(1)
	v_cmp_le_f32_e64 s[4:5], |v5|, s4
	s_and_saveexec_b64 s[14:15], s[4:5]
	s_xor_b64 s[14:15], exec, s[14:15]
	s_cbranch_execz .LBB15_9
; %bb.4:
	v_fma_f32 v3, |v5|, 0.5, -2.0
	v_mov_b32_e32 v4, 0xa3c2be86
	v_fmac_f32_e32 v4, 0x224cf950, v3
	v_mov_b32_e32 v8, 0xa24cf950
	v_fmac_f32_e32 v8, v3, v4
	v_add_f32_e32 v8, 0x25331f1f, v8
	v_fma_f32 v4, v3, v8, -v4
	v_add_f32_e32 v4, 0xa69f5554, v4
	v_fma_f32 v8, v3, v4, -v8
	;; [unrolled: 2-line block ×25, first 2 shown]
	v_add_f32_e32 v4, 0xbe34a688, v4
	s_mov_b32 s4, 0x3fb8aa3b
	v_fma_f32 v3, v3, v4, -v8
	v_mul_f32_e64 v4, |v5|, s4
	v_rndne_f32_e32 v9, v4
	v_sub_f32_e32 v10, v4, v9
	v_fma_f32 v4, |v5|, s4, -v4
	s_mov_b32 s4, 0x32a5705f
	v_fma_f32 v4, |v5|, s4, v4
	v_add_f32_e32 v4, v10, v4
	v_exp_f32_e32 v10, v4
	v_cvt_i32_f32_e32 v9, v9
	v_add_f32_e32 v3, 0x3e81531c, v3
	v_sub_f32_e32 v3, v3, v8
	v_mul_f32_e32 v3, 0.5, v3
	s_mov_b32 s4, 0xc2ce8ed0
	v_mul_f32_e64 v4, |v5|, v3
	v_ldexp_f32 v3, v10, v9
	v_cmp_nlt_f32_e64 s[4:5], |v5|, s4
	v_cndmask_b32_e64 v3, 0, v3, s[4:5]
	s_mov_b32 s4, 0x42b17218
	v_mov_b32_e32 v8, 0x7f800000
	v_cmp_ngt_f32_e64 s[4:5], |v5|, s4
	v_cmp_ngt_f32_e32 vcc, 0, v5
	v_cndmask_b32_e64 v8, v8, v3, s[4:5]
                                        ; implicit-def: $vgpr3
	s_and_saveexec_b64 s[4:5], vcc
	s_xor_b64 s[4:5], exec, s[4:5]
; %bb.5:
	v_mul_f32_e32 v3, v8, v4
                                        ; implicit-def: $vgpr8
                                        ; implicit-def: $vgpr4
; %bb.6:
	s_andn2_saveexec_b64 s[4:5], s[4:5]
; %bb.7:
	v_mul_f32_e64 v3, v4, -v8
; %bb.8:
	s_or_b64 exec, exec, s[4:5]
.LBB15_9:
	s_andn2_saveexec_b64 s[14:15], s[14:15]
	s_cbranch_execz .LBB15_15
; %bb.10:
	v_and_b32_e32 v3, 0x7fffffff, v5
	s_mov_b32 s16, 0x42000000
	v_div_scale_f32 v4, s[4:5], v3, v3, s16
	v_div_scale_f32 v3, vcc, s16, v3, s16
	s_mov_b32 s17, 0x3fb8aa3b
	s_mov_b32 s18, 0x32a5705f
	v_mov_b32_e32 v8, 0x22a2dc57
	v_mov_b32_e32 v10, 0xa30aab6e
	v_cmp_ngt_f32_e64 s[4:5], 0, v5
	v_rcp_f32_e32 v9, v4
	v_fma_f32 v11, -v4, v9, 1.0
	v_fmac_f32_e32 v9, v11, v9
	v_mul_f32_e32 v11, v3, v9
	v_fma_f32 v12, -v4, v11, v3
	v_fmac_f32_e32 v11, v12, v9
	v_fma_f32 v3, -v4, v11, v3
	v_div_fmas_f32 v3, v3, v9, v11
	v_mul_f32_e64 v4, |v5|, s17
	v_rndne_f32_e32 v9, v4
	v_fma_f32 v11, |v5|, s17, -v4
	v_sub_f32_e32 v4, v4, v9
	v_fma_f32 v11, |v5|, s18, v11
	v_add_f32_e32 v4, v4, v11
	v_cvt_i32_f32_e32 v9, v9
	v_exp_f32_e32 v4, v4
	s_mov_b32 s17, 0xc2ce8ed0
	s_mov_b32 s18, 0x42b17218
	v_cmp_nlt_f32_e64 vcc, |v5|, s17
	v_ldexp_f32 v4, v4, v9
	v_mov_b32_e32 v11, 0x7f800000
	v_cndmask_b32_e32 v4, 0, v4, vcc
	v_cmp_ngt_f32_e64 vcc, |v5|, s18
	v_div_fixup_f32 v3, v3, |v5|, s16
	v_add_f32_e32 v3, -2.0, v3
	v_fmac_f32_e32 v8, 0x230aab6e, v3
	v_fmac_f32_e32 v10, v3, v8
	v_add_f32_e32 v9, 0xa456751e, v10
	v_fma_f32 v8, v3, v9, -v8
	v_add_f32_e32 v8, 0xa4140365, v8
	v_fma_f32 v9, v3, v8, -v9
	;; [unrolled: 2-line block ×22, first 2 shown]
	v_add_f32_e32 v3, 0x3f4750c6, v3
	v_cndmask_b32_e32 v4, v11, v4, vcc
	v_sub_f32_e32 v8, v3, v9
                                        ; implicit-def: $vgpr3
	s_and_saveexec_b64 s[16:17], s[4:5]
	s_xor_b64 s[16:17], exec, s[16:17]
	s_cbranch_execz .LBB15_12
; %bb.11:
	s_mov_b32 s4, 0xf800000
	s_mov_b32 s5, 0x4f800000
	v_mul_f32_e64 v3, |v5|, s5
	v_cmp_lt_f32_e64 vcc, |v5|, s4
	v_cndmask_b32_e64 v3, |v5|, v3, vcc
	v_sqrt_f32_e32 v9, v3
	v_mul_f32_e32 v8, 0.5, v8
	v_mul_f32_e32 v4, v4, v8
	v_add_u32_e32 v8, -1, v9
	v_fma_f32 v10, -v8, v9, v3
	v_cmp_ge_f32_e64 s[4:5], 0, v10
	v_add_u32_e32 v10, 1, v9
	v_cndmask_b32_e64 v8, v9, v8, s[4:5]
	v_fma_f32 v9, -v10, v9, v3
	v_cmp_lt_f32_e64 s[4:5], 0, v9
	v_cndmask_b32_e64 v8, v8, v10, s[4:5]
	v_mul_f32_e32 v9, 0x37800000, v8
	v_cndmask_b32_e32 v8, v8, v9, vcc
	v_mov_b32_e32 v9, 0x260
	v_cmp_class_f32_e32 vcc, v3, v9
	v_cndmask_b32_e32 v3, v8, v3, vcc
	v_div_scale_f32 v8, s[4:5], v3, v3, v4
	v_div_scale_f32 v9, vcc, v4, v3, v4
	v_rcp_f32_e32 v10, v8
	v_fma_f32 v11, -v8, v10, 1.0
	v_fmac_f32_e32 v10, v11, v10
	v_mul_f32_e32 v11, v9, v10
	v_fma_f32 v12, -v8, v11, v9
	v_fmac_f32_e32 v11, v12, v10
	v_fma_f32 v8, -v8, v11, v9
	v_div_fmas_f32 v8, v8, v10, v11
	v_div_fixup_f32 v3, v8, v3, v4
                                        ; implicit-def: $vgpr8
                                        ; implicit-def: $vgpr4
.LBB15_12:
	s_andn2_saveexec_b64 s[16:17], s[16:17]
	s_cbranch_execz .LBB15_14
; %bb.13:
	s_mov_b32 s4, 0xf800000
	s_mov_b32 s5, 0x4f800000
	v_mul_f32_e64 v3, |v5|, s5
	v_cmp_lt_f32_e64 vcc, |v5|, s4
	v_cndmask_b32_e64 v3, |v5|, v3, vcc
	v_sqrt_f32_e32 v5, v3
	v_add_u32_e32 v9, -1, v5
	v_fma_f32 v10, -v9, v5, v3
	v_cmp_ge_f32_e64 s[4:5], 0, v10
	v_add_u32_e32 v10, 1, v5
	v_cndmask_b32_e64 v9, v5, v9, s[4:5]
	v_fma_f32 v5, -v10, v5, v3
	v_cmp_lt_f32_e64 s[4:5], 0, v5
	v_cndmask_b32_e64 v5, v9, v10, s[4:5]
	v_mul_f32_e32 v9, 0x37800000, v5
	v_cndmask_b32_e32 v5, v5, v9, vcc
	v_mov_b32_e32 v9, 0x260
	v_cmp_class_f32_e32 vcc, v3, v9
	v_cndmask_b32_e32 v3, v5, v3, vcc
	v_mul_f32_e32 v5, -0.5, v8
	v_mul_f32_e32 v4, v4, v5
	v_div_scale_f32 v5, s[4:5], v3, v3, v4
	v_div_scale_f32 v8, vcc, v4, v3, v4
	v_rcp_f32_e32 v9, v5
	v_fma_f32 v10, -v5, v9, 1.0
	v_fmac_f32_e32 v9, v10, v9
	v_mul_f32_e32 v10, v8, v9
	v_fma_f32 v11, -v5, v10, v8
	v_fmac_f32_e32 v10, v11, v9
	v_fma_f32 v5, -v5, v10, v8
	v_div_fmas_f32 v5, v5, v9, v10
	v_div_fixup_f32 v3, v5, v3, v4
.LBB15_14:
	s_or_b64 exec, exec, s[16:17]
.LBB15_15:
	s_or_b64 exec, exec, s[14:15]
	s_mov_b32 s4, 0x41000000
	v_cmp_le_f32_e64 s[4:5], |v6|, s4
	s_and_saveexec_b64 s[14:15], s[4:5]
	s_xor_b64 s[14:15], exec, s[14:15]
	s_cbranch_execz .LBB15_21
; %bb.16:
	v_fma_f32 v4, |v6|, 0.5, -2.0
	v_mov_b32_e32 v5, 0xa3c2be86
	v_fmac_f32_e32 v5, 0x224cf950, v4
	v_mov_b32_e32 v8, 0xa24cf950
	v_fmac_f32_e32 v8, v4, v5
	v_add_f32_e32 v8, 0x25331f1f, v8
	v_fma_f32 v5, v4, v8, -v5
	v_add_f32_e32 v5, 0xa69f5554, v5
	v_fma_f32 v8, v4, v5, -v8
	;; [unrolled: 2-line block ×25, first 2 shown]
	v_add_f32_e32 v5, 0xbe34a688, v5
	s_mov_b32 s4, 0x3fb8aa3b
	v_fma_f32 v4, v4, v5, -v8
	v_mul_f32_e64 v5, |v6|, s4
	v_rndne_f32_e32 v9, v5
	v_sub_f32_e32 v10, v5, v9
	v_fma_f32 v5, |v6|, s4, -v5
	s_mov_b32 s4, 0x32a5705f
	v_fma_f32 v5, |v6|, s4, v5
	v_add_f32_e32 v5, v10, v5
	v_exp_f32_e32 v10, v5
	v_cvt_i32_f32_e32 v9, v9
	v_add_f32_e32 v4, 0x3e81531c, v4
	v_sub_f32_e32 v4, v4, v8
	v_mul_f32_e32 v4, 0.5, v4
	s_mov_b32 s4, 0xc2ce8ed0
	v_mul_f32_e64 v5, |v6|, v4
	v_ldexp_f32 v4, v10, v9
	v_cmp_nlt_f32_e64 s[4:5], |v6|, s4
	v_cndmask_b32_e64 v4, 0, v4, s[4:5]
	s_mov_b32 s4, 0x42b17218
	v_mov_b32_e32 v8, 0x7f800000
	v_cmp_ngt_f32_e64 s[4:5], |v6|, s4
	v_cmp_ngt_f32_e32 vcc, 0, v6
	v_cndmask_b32_e64 v6, v8, v4, s[4:5]
	s_and_saveexec_b64 s[4:5], vcc
	s_xor_b64 s[4:5], exec, s[4:5]
; %bb.17:
	v_mul_f32_e32 v4, v6, v5
                                        ; implicit-def: $vgpr6
                                        ; implicit-def: $vgpr5
; %bb.18:
	s_andn2_saveexec_b64 s[4:5], s[4:5]
; %bb.19:
	v_mul_f32_e64 v4, v5, -v6
; %bb.20:
	s_or_b64 exec, exec, s[4:5]
                                        ; implicit-def: $vgpr5_vgpr6
.LBB15_21:
	s_andn2_saveexec_b64 s[14:15], s[14:15]
	s_cbranch_execz .LBB15_27
; %bb.22:
	v_and_b32_e32 v4, 0x7fffffff, v6
	s_mov_b32 s16, 0x42000000
	v_div_scale_f32 v5, s[4:5], v4, v4, s16
	v_div_scale_f32 v4, vcc, s16, v4, s16
	s_mov_b32 s17, 0x3fb8aa3b
	s_mov_b32 s18, 0x32a5705f
	v_mov_b32_e32 v8, 0x22a2dc57
	v_mov_b32_e32 v10, 0xa30aab6e
	v_cmp_ngt_f32_e64 s[4:5], 0, v6
	v_rcp_f32_e32 v9, v5
	v_fma_f32 v11, -v5, v9, 1.0
	v_fmac_f32_e32 v9, v11, v9
	v_mul_f32_e32 v11, v4, v9
	v_fma_f32 v12, -v5, v11, v4
	v_fmac_f32_e32 v11, v12, v9
	v_fma_f32 v4, -v5, v11, v4
	v_div_fmas_f32 v4, v4, v9, v11
	v_mul_f32_e64 v5, |v6|, s17
	v_rndne_f32_e32 v9, v5
	v_fma_f32 v11, |v6|, s17, -v5
	v_sub_f32_e32 v5, v5, v9
	v_fma_f32 v11, |v6|, s18, v11
	v_add_f32_e32 v5, v5, v11
	v_cvt_i32_f32_e32 v9, v9
	v_exp_f32_e32 v5, v5
	s_mov_b32 s17, 0xc2ce8ed0
	s_mov_b32 s18, 0x42b17218
	v_cmp_nlt_f32_e64 vcc, |v6|, s17
	v_ldexp_f32 v5, v5, v9
	v_mov_b32_e32 v11, 0x7f800000
	v_cndmask_b32_e32 v5, 0, v5, vcc
	v_cmp_ngt_f32_e64 vcc, |v6|, s18
	v_div_fixup_f32 v4, v4, |v6|, s16
	v_add_f32_e32 v4, -2.0, v4
	v_fmac_f32_e32 v8, 0x230aab6e, v4
	v_fmac_f32_e32 v10, v4, v8
	v_add_f32_e32 v9, 0xa456751e, v10
	v_fma_f32 v8, v4, v9, -v8
	v_add_f32_e32 v8, 0xa4140365, v8
	v_fma_f32 v9, v4, v8, -v9
	;; [unrolled: 2-line block ×22, first 2 shown]
	v_add_f32_e32 v4, 0x3f4750c6, v4
	v_cndmask_b32_e32 v5, v11, v5, vcc
	v_sub_f32_e32 v8, v4, v9
	s_and_saveexec_b64 s[16:17], s[4:5]
	s_xor_b64 s[16:17], exec, s[16:17]
	s_cbranch_execz .LBB15_24
; %bb.23:
	s_mov_b32 s4, 0xf800000
	s_mov_b32 s5, 0x4f800000
	v_mul_f32_e64 v4, |v6|, s5
	v_cmp_lt_f32_e64 vcc, |v6|, s4
	v_cndmask_b32_e64 v4, |v6|, v4, vcc
	v_sqrt_f32_e32 v6, v4
	v_mul_f32_e32 v8, 0.5, v8
	v_mul_f32_e32 v5, v5, v8
	v_add_u32_e32 v8, -1, v6
	v_fma_f32 v9, -v8, v6, v4
	v_cmp_ge_f32_e64 s[4:5], 0, v9
	v_add_u32_e32 v9, 1, v6
	v_cndmask_b32_e64 v8, v6, v8, s[4:5]
	v_fma_f32 v6, -v9, v6, v4
	v_cmp_lt_f32_e64 s[4:5], 0, v6
	v_cndmask_b32_e64 v6, v8, v9, s[4:5]
	v_mul_f32_e32 v8, 0x37800000, v6
	v_cndmask_b32_e32 v6, v6, v8, vcc
	v_mov_b32_e32 v8, 0x260
	v_cmp_class_f32_e32 vcc, v4, v8
	v_cndmask_b32_e32 v4, v6, v4, vcc
	v_div_scale_f32 v6, s[4:5], v4, v4, v5
	v_div_scale_f32 v8, vcc, v5, v4, v5
	v_rcp_f32_e32 v9, v6
	v_fma_f32 v10, -v6, v9, 1.0
	v_fmac_f32_e32 v9, v10, v9
	v_mul_f32_e32 v10, v8, v9
	v_fma_f32 v11, -v6, v10, v8
	v_fmac_f32_e32 v10, v11, v9
	v_fma_f32 v6, -v6, v10, v8
	v_div_fmas_f32 v6, v6, v9, v10
                                        ; implicit-def: $vgpr8
	v_div_fixup_f32 v4, v6, v4, v5
                                        ; implicit-def: $vgpr5_vgpr6
                                        ; implicit-def: $vgpr5
.LBB15_24:
	s_andn2_saveexec_b64 s[16:17], s[16:17]
	s_cbranch_execz .LBB15_26
; %bb.25:
	s_mov_b32 s4, 0xf800000
	s_mov_b32 s5, 0x4f800000
	v_mul_f32_e64 v4, |v6|, s5
	v_cmp_lt_f32_e64 vcc, |v6|, s4
	v_cndmask_b32_e64 v4, |v6|, v4, vcc
	v_sqrt_f32_e32 v6, v4
	v_add_u32_e32 v9, -1, v6
	v_fma_f32 v10, -v9, v6, v4
	v_cmp_ge_f32_e64 s[4:5], 0, v10
	v_add_u32_e32 v10, 1, v6
	v_cndmask_b32_e64 v9, v6, v9, s[4:5]
	v_fma_f32 v6, -v10, v6, v4
	v_cmp_lt_f32_e64 s[4:5], 0, v6
	v_cndmask_b32_e64 v6, v9, v10, s[4:5]
	v_mul_f32_e32 v9, 0x37800000, v6
	v_cndmask_b32_e32 v6, v6, v9, vcc
	v_mov_b32_e32 v9, 0x260
	v_cmp_class_f32_e32 vcc, v4, v9
	v_cndmask_b32_e32 v4, v6, v4, vcc
	v_mul_f32_e32 v6, -0.5, v8
	v_mul_f32_e32 v5, v5, v6
	v_div_scale_f32 v6, s[4:5], v4, v4, v5
	v_div_scale_f32 v8, vcc, v5, v4, v5
	v_rcp_f32_e32 v9, v6
	v_fma_f32 v10, -v6, v9, 1.0
	v_fmac_f32_e32 v9, v10, v9
	v_mul_f32_e32 v10, v8, v9
	v_fma_f32 v11, -v6, v10, v8
	v_fmac_f32_e32 v10, v11, v9
	v_fma_f32 v6, -v6, v10, v8
	v_div_fmas_f32 v6, v6, v9, v10
	v_div_fixup_f32 v4, v6, v4, v5
.LBB15_26:
	s_or_b64 exec, exec, s[16:17]
.LBB15_27:
	s_or_b64 exec, exec, s[14:15]
	s_mov_b32 s4, 0x41000000
	s_waitcnt vmcnt(0)
	v_cmp_le_f32_e64 s[4:5], |v1|, s4
                                        ; implicit-def: $vgpr5
	s_and_saveexec_b64 s[14:15], s[4:5]
	s_xor_b64 s[14:15], exec, s[14:15]
	s_cbranch_execz .LBB15_33
; %bb.28:
	v_fma_f32 v5, |v1|, 0.5, -2.0
	v_mov_b32_e32 v6, 0xa3c2be86
	v_fmac_f32_e32 v6, 0x224cf950, v5
	v_mov_b32_e32 v8, 0xa24cf950
	v_fmac_f32_e32 v8, v5, v6
	v_add_f32_e32 v8, 0x25331f1f, v8
	v_fma_f32 v6, v5, v8, -v6
	v_add_f32_e32 v6, 0xa69f5554, v6
	v_fma_f32 v8, v5, v6, -v8
	;; [unrolled: 2-line block ×25, first 2 shown]
	v_add_f32_e32 v6, 0xbe34a688, v6
	s_mov_b32 s4, 0x3fb8aa3b
	v_fma_f32 v5, v5, v6, -v8
	v_mul_f32_e64 v6, |v1|, s4
	v_rndne_f32_e32 v9, v6
	v_sub_f32_e32 v10, v6, v9
	v_fma_f32 v6, |v1|, s4, -v6
	s_mov_b32 s4, 0x32a5705f
	v_fma_f32 v6, |v1|, s4, v6
	v_add_f32_e32 v6, v10, v6
	v_exp_f32_e32 v10, v6
	v_cvt_i32_f32_e32 v9, v9
	v_add_f32_e32 v5, 0x3e81531c, v5
	v_sub_f32_e32 v5, v5, v8
	v_mul_f32_e32 v5, 0.5, v5
	s_mov_b32 s4, 0xc2ce8ed0
	v_mul_f32_e64 v6, |v1|, v5
	v_ldexp_f32 v5, v10, v9
	v_cmp_nlt_f32_e64 s[4:5], |v1|, s4
	v_cndmask_b32_e64 v5, 0, v5, s[4:5]
	s_mov_b32 s4, 0x42b17218
	v_mov_b32_e32 v8, 0x7f800000
	v_cmp_ngt_f32_e64 s[4:5], |v1|, s4
	v_cmp_ngt_f32_e32 vcc, 0, v1
	v_cndmask_b32_e64 v8, v8, v5, s[4:5]
                                        ; implicit-def: $vgpr5
	s_and_saveexec_b64 s[4:5], vcc
	s_xor_b64 s[4:5], exec, s[4:5]
; %bb.29:
	v_mul_f32_e32 v5, v8, v6
                                        ; implicit-def: $vgpr8
                                        ; implicit-def: $vgpr6
; %bb.30:
	s_andn2_saveexec_b64 s[4:5], s[4:5]
; %bb.31:
	v_mul_f32_e64 v5, v6, -v8
; %bb.32:
	s_or_b64 exec, exec, s[4:5]
.LBB15_33:
	s_andn2_saveexec_b64 s[14:15], s[14:15]
	s_cbranch_execz .LBB15_39
; %bb.34:
	v_and_b32_e32 v5, 0x7fffffff, v1
	s_mov_b32 s16, 0x42000000
	v_div_scale_f32 v6, s[4:5], v5, v5, s16
	v_div_scale_f32 v5, vcc, s16, v5, s16
	s_mov_b32 s17, 0x3fb8aa3b
	s_mov_b32 s18, 0x32a5705f
	v_mov_b32_e32 v8, 0x22a2dc57
	v_mov_b32_e32 v10, 0xa30aab6e
	v_cmp_ngt_f32_e64 s[4:5], 0, v1
	v_rcp_f32_e32 v9, v6
	v_fma_f32 v11, -v6, v9, 1.0
	v_fmac_f32_e32 v9, v11, v9
	v_mul_f32_e32 v11, v5, v9
	v_fma_f32 v12, -v6, v11, v5
	v_fmac_f32_e32 v11, v12, v9
	v_fma_f32 v5, -v6, v11, v5
	v_div_fmas_f32 v5, v5, v9, v11
	v_mul_f32_e64 v6, |v1|, s17
	v_rndne_f32_e32 v9, v6
	v_fma_f32 v11, |v1|, s17, -v6
	v_sub_f32_e32 v6, v6, v9
	v_fma_f32 v11, |v1|, s18, v11
	v_add_f32_e32 v6, v6, v11
	v_cvt_i32_f32_e32 v9, v9
	v_exp_f32_e32 v6, v6
	s_mov_b32 s17, 0xc2ce8ed0
	s_mov_b32 s18, 0x42b17218
	v_cmp_nlt_f32_e64 vcc, |v1|, s17
	v_ldexp_f32 v6, v6, v9
	v_mov_b32_e32 v11, 0x7f800000
	v_cndmask_b32_e32 v6, 0, v6, vcc
	v_cmp_ngt_f32_e64 vcc, |v1|, s18
	v_div_fixup_f32 v5, v5, |v1|, s16
	v_add_f32_e32 v5, -2.0, v5
	v_fmac_f32_e32 v8, 0x230aab6e, v5
	v_fmac_f32_e32 v10, v5, v8
	v_add_f32_e32 v9, 0xa456751e, v10
	v_fma_f32 v8, v5, v9, -v8
	v_add_f32_e32 v8, 0xa4140365, v8
	v_fma_f32 v9, v5, v8, -v9
	;; [unrolled: 2-line block ×22, first 2 shown]
	v_add_f32_e32 v5, 0x3f4750c6, v5
	v_cndmask_b32_e32 v6, v11, v6, vcc
	v_sub_f32_e32 v8, v5, v9
                                        ; implicit-def: $vgpr5
	s_and_saveexec_b64 s[16:17], s[4:5]
	s_xor_b64 s[16:17], exec, s[16:17]
	s_cbranch_execz .LBB15_36
; %bb.35:
	s_mov_b32 s4, 0xf800000
	s_mov_b32 s5, 0x4f800000
	v_mul_f32_e64 v5, |v1|, s5
	v_cmp_lt_f32_e64 vcc, |v1|, s4
	v_cndmask_b32_e64 v5, |v1|, v5, vcc
	v_sqrt_f32_e32 v9, v5
	v_mul_f32_e32 v8, 0.5, v8
	v_mul_f32_e32 v6, v6, v8
	v_add_u32_e32 v8, -1, v9
	v_fma_f32 v10, -v8, v9, v5
	v_cmp_ge_f32_e64 s[4:5], 0, v10
	v_add_u32_e32 v10, 1, v9
	v_cndmask_b32_e64 v8, v9, v8, s[4:5]
	v_fma_f32 v9, -v10, v9, v5
	v_cmp_lt_f32_e64 s[4:5], 0, v9
	v_cndmask_b32_e64 v8, v8, v10, s[4:5]
	v_mul_f32_e32 v9, 0x37800000, v8
	v_cndmask_b32_e32 v8, v8, v9, vcc
	v_mov_b32_e32 v9, 0x260
	v_cmp_class_f32_e32 vcc, v5, v9
	v_cndmask_b32_e32 v5, v8, v5, vcc
	v_div_scale_f32 v8, s[4:5], v5, v5, v6
	v_div_scale_f32 v9, vcc, v6, v5, v6
	v_rcp_f32_e32 v10, v8
	v_fma_f32 v11, -v8, v10, 1.0
	v_fmac_f32_e32 v10, v11, v10
	v_mul_f32_e32 v11, v9, v10
	v_fma_f32 v12, -v8, v11, v9
	v_fmac_f32_e32 v11, v12, v10
	v_fma_f32 v8, -v8, v11, v9
	v_div_fmas_f32 v8, v8, v10, v11
	v_div_fixup_f32 v5, v8, v5, v6
                                        ; implicit-def: $vgpr8
                                        ; implicit-def: $vgpr6
.LBB15_36:
	s_andn2_saveexec_b64 s[16:17], s[16:17]
	s_cbranch_execz .LBB15_38
; %bb.37:
	s_mov_b32 s4, 0xf800000
	s_mov_b32 s5, 0x4f800000
	v_mul_f32_e64 v5, |v1|, s5
	v_cmp_lt_f32_e64 vcc, |v1|, s4
	v_cndmask_b32_e64 v1, |v1|, v5, vcc
	v_sqrt_f32_e32 v5, v1
	v_add_u32_e32 v9, -1, v5
	v_fma_f32 v10, -v9, v5, v1
	v_cmp_ge_f32_e64 s[4:5], 0, v10
	v_add_u32_e32 v10, 1, v5
	v_cndmask_b32_e64 v9, v5, v9, s[4:5]
	v_fma_f32 v5, -v10, v5, v1
	v_cmp_lt_f32_e64 s[4:5], 0, v5
	v_cndmask_b32_e64 v5, v9, v10, s[4:5]
	v_mul_f32_e32 v9, 0x37800000, v5
	v_cndmask_b32_e32 v5, v5, v9, vcc
	v_mov_b32_e32 v9, 0x260
	v_cmp_class_f32_e32 vcc, v1, v9
	v_cndmask_b32_e32 v1, v5, v1, vcc
	v_mul_f32_e32 v5, -0.5, v8
	v_mul_f32_e32 v5, v6, v5
	v_div_scale_f32 v6, s[4:5], v1, v1, v5
	v_div_scale_f32 v8, vcc, v5, v1, v5
	v_rcp_f32_e32 v9, v6
	v_fma_f32 v10, -v6, v9, 1.0
	v_fmac_f32_e32 v9, v10, v9
	v_mul_f32_e32 v10, v8, v9
	v_fma_f32 v11, -v6, v10, v8
	v_fmac_f32_e32 v10, v11, v9
	v_fma_f32 v6, -v6, v10, v8
	v_div_fmas_f32 v6, v6, v9, v10
	v_div_fixup_f32 v5, v6, v1, v5
.LBB15_38:
	s_or_b64 exec, exec, s[16:17]
.LBB15_39:
	s_or_b64 exec, exec, s[14:15]
	s_mov_b32 s4, 0x41000000
	v_cmp_le_f32_e64 s[4:5], |v2|, s4
	s_and_saveexec_b64 s[14:15], s[4:5]
	s_xor_b64 s[14:15], exec, s[14:15]
	s_cbranch_execz .LBB15_45
; %bb.40:
	v_fma_f32 v1, |v2|, 0.5, -2.0
	v_mov_b32_e32 v6, 0xa3c2be86
	v_fmac_f32_e32 v6, 0x224cf950, v1
	v_mov_b32_e32 v8, 0xa24cf950
	v_fmac_f32_e32 v8, v1, v6
	v_add_f32_e32 v8, 0x25331f1f, v8
	v_fma_f32 v6, v1, v8, -v6
	v_add_f32_e32 v6, 0xa69f5554, v6
	v_fma_f32 v8, v1, v6, -v8
	;; [unrolled: 2-line block ×25, first 2 shown]
	v_add_f32_e32 v6, 0xbe34a688, v6
	s_mov_b32 s4, 0x3fb8aa3b
	v_fma_f32 v1, v1, v6, -v8
	v_mul_f32_e64 v6, |v2|, s4
	v_rndne_f32_e32 v9, v6
	v_sub_f32_e32 v10, v6, v9
	v_fma_f32 v6, |v2|, s4, -v6
	s_mov_b32 s4, 0x32a5705f
	v_fma_f32 v6, |v2|, s4, v6
	v_add_f32_e32 v6, v10, v6
	v_exp_f32_e32 v6, v6
	v_cvt_i32_f32_e32 v9, v9
	s_mov_b32 s4, 0xc2ce8ed0
	v_add_f32_e32 v1, 0x3e81531c, v1
	v_cmp_nlt_f32_e64 s[4:5], |v2|, s4
	v_ldexp_f32 v6, v6, v9
	v_sub_f32_e32 v1, v1, v8
	v_cndmask_b32_e64 v6, 0, v6, s[4:5]
	s_mov_b32 s4, 0x42b17218
	v_mul_f32_e32 v1, 0.5, v1
	v_mov_b32_e32 v8, 0x7f800000
	v_cmp_ngt_f32_e64 s[4:5], |v2|, s4
	v_cmp_ngt_f32_e32 vcc, 0, v2
	v_mul_f32_e64 v1, |v2|, v1
	v_cndmask_b32_e64 v2, v8, v6, s[4:5]
	s_and_saveexec_b64 s[4:5], vcc
	s_xor_b64 s[4:5], exec, s[4:5]
; %bb.41:
	v_mul_f32_e32 v6, v2, v1
                                        ; implicit-def: $vgpr2
                                        ; implicit-def: $vgpr1
; %bb.42:
	s_andn2_saveexec_b64 s[4:5], s[4:5]
; %bb.43:
	v_mul_f32_e64 v6, v1, -v2
; %bb.44:
	s_or_b64 exec, exec, s[4:5]
                                        ; implicit-def: $vgpr1_vgpr2
.LBB15_45:
	s_andn2_saveexec_b64 s[14:15], s[14:15]
	s_cbranch_execz .LBB15_51
; %bb.46:
	v_and_b32_e32 v1, 0x7fffffff, v2
	s_mov_b32 s16, 0x42000000
	v_div_scale_f32 v6, s[4:5], v1, v1, s16
	v_div_scale_f32 v1, vcc, s16, v1, s16
	s_mov_b32 s17, 0x3fb8aa3b
	s_mov_b32 s18, 0x32a5705f
	v_mov_b32_e32 v8, 0x22a2dc57
	v_mov_b32_e32 v10, 0xa30aab6e
	v_cmp_ngt_f32_e64 s[4:5], 0, v2
	v_rcp_f32_e32 v9, v6
	v_fma_f32 v11, -v6, v9, 1.0
	v_fmac_f32_e32 v9, v11, v9
	v_mul_f32_e32 v11, v1, v9
	v_fma_f32 v12, -v6, v11, v1
	v_fmac_f32_e32 v11, v12, v9
	v_fma_f32 v1, -v6, v11, v1
	v_div_fmas_f32 v1, v1, v9, v11
	v_mul_f32_e64 v6, |v2|, s17
	v_rndne_f32_e32 v9, v6
	v_fma_f32 v11, |v2|, s17, -v6
	v_sub_f32_e32 v6, v6, v9
	v_fma_f32 v11, |v2|, s18, v11
	v_add_f32_e32 v6, v6, v11
	v_cvt_i32_f32_e32 v9, v9
	v_exp_f32_e32 v6, v6
	s_mov_b32 s17, 0xc2ce8ed0
	s_mov_b32 s18, 0x42b17218
	v_cmp_nlt_f32_e64 vcc, |v2|, s17
	v_ldexp_f32 v6, v6, v9
	v_mov_b32_e32 v11, 0x7f800000
	v_cndmask_b32_e32 v6, 0, v6, vcc
	v_cmp_ngt_f32_e64 vcc, |v2|, s18
	v_div_fixup_f32 v1, v1, |v2|, s16
	v_add_f32_e32 v1, -2.0, v1
	v_fmac_f32_e32 v8, 0x230aab6e, v1
	v_fmac_f32_e32 v10, v1, v8
	v_add_f32_e32 v9, 0xa456751e, v10
	v_fma_f32 v8, v1, v9, -v8
	v_add_f32_e32 v8, 0xa4140365, v8
	v_fma_f32 v9, v1, v8, -v9
	;; [unrolled: 2-line block ×22, first 2 shown]
	v_add_f32_e32 v8, 0x3f4750c6, v1
	v_cndmask_b32_e32 v1, v11, v6, vcc
	v_sub_f32_e32 v8, v8, v9
	s_and_saveexec_b64 s[16:17], s[4:5]
	s_xor_b64 s[16:17], exec, s[16:17]
	s_cbranch_execz .LBB15_48
; %bb.47:
	s_mov_b32 s4, 0xf800000
	s_mov_b32 s5, 0x4f800000
	v_mul_f32_e64 v6, |v2|, s5
	v_cmp_lt_f32_e64 vcc, |v2|, s4
	v_cndmask_b32_e64 v2, |v2|, v6, vcc
	v_sqrt_f32_e32 v6, v2
	v_mul_f32_e32 v8, 0.5, v8
	v_mul_f32_e32 v1, v1, v8
	v_add_u32_e32 v8, -1, v6
	v_fma_f32 v9, -v8, v6, v2
	v_cmp_ge_f32_e64 s[4:5], 0, v9
	v_add_u32_e32 v9, 1, v6
	v_cndmask_b32_e64 v8, v6, v8, s[4:5]
	v_fma_f32 v6, -v9, v6, v2
	v_cmp_lt_f32_e64 s[4:5], 0, v6
	v_cndmask_b32_e64 v6, v8, v9, s[4:5]
	v_mul_f32_e32 v8, 0x37800000, v6
	v_cndmask_b32_e32 v6, v6, v8, vcc
	v_mov_b32_e32 v8, 0x260
	v_cmp_class_f32_e32 vcc, v2, v8
	v_cndmask_b32_e32 v2, v6, v2, vcc
	v_div_scale_f32 v6, s[4:5], v2, v2, v1
	v_div_scale_f32 v8, vcc, v1, v2, v1
	v_rcp_f32_e32 v9, v6
	v_fma_f32 v10, -v6, v9, 1.0
	v_fmac_f32_e32 v9, v10, v9
	v_mul_f32_e32 v10, v8, v9
	v_fma_f32 v11, -v6, v10, v8
	v_fmac_f32_e32 v10, v11, v9
	v_fma_f32 v6, -v6, v10, v8
	v_div_fmas_f32 v6, v6, v9, v10
                                        ; implicit-def: $vgpr8
	v_div_fixup_f32 v6, v6, v2, v1
                                        ; implicit-def: $vgpr1_vgpr2
                                        ; implicit-def: $vgpr1
.LBB15_48:
	s_andn2_saveexec_b64 s[16:17], s[16:17]
	s_cbranch_execz .LBB15_50
; %bb.49:
	s_mov_b32 s4, 0xf800000
	s_mov_b32 s5, 0x4f800000
	v_mul_f32_e64 v6, |v2|, s5
	v_cmp_lt_f32_e64 vcc, |v2|, s4
	v_cndmask_b32_e64 v2, |v2|, v6, vcc
	v_sqrt_f32_e32 v6, v2
	v_add_u32_e32 v9, -1, v6
	v_fma_f32 v10, -v9, v6, v2
	v_cmp_ge_f32_e64 s[4:5], 0, v10
	v_add_u32_e32 v10, 1, v6
	v_cndmask_b32_e64 v9, v6, v9, s[4:5]
	v_fma_f32 v6, -v10, v6, v2
	v_cmp_lt_f32_e64 s[4:5], 0, v6
	v_cndmask_b32_e64 v6, v9, v10, s[4:5]
	v_mul_f32_e32 v9, 0x37800000, v6
	v_cndmask_b32_e32 v6, v6, v9, vcc
	v_mov_b32_e32 v9, 0x260
	v_cmp_class_f32_e32 vcc, v2, v9
	v_cndmask_b32_e32 v2, v6, v2, vcc
	v_mul_f32_e32 v6, -0.5, v8
	v_mul_f32_e32 v1, v1, v6
	v_div_scale_f32 v6, s[4:5], v2, v2, v1
	v_div_scale_f32 v8, vcc, v1, v2, v1
	v_rcp_f32_e32 v9, v6
	v_fma_f32 v10, -v6, v9, 1.0
	v_fmac_f32_e32 v9, v10, v9
	v_mul_f32_e32 v10, v8, v9
	v_fma_f32 v11, -v6, v10, v8
	v_fmac_f32_e32 v10, v11, v9
	v_fma_f32 v6, -v6, v10, v8
	v_div_fmas_f32 v6, v6, v9, v10
	v_div_fixup_f32 v6, v6, v2, v1
.LBB15_50:
	s_or_b64 exec, exec, s[16:17]
.LBB15_51:
	s_or_b64 exec, exec, s[14:15]
	s_add_u32 s4, s8, s12
	s_addc_u32 s5, s9, s13
	global_store_dwordx2 v7, v[3:4], s[4:5]
	global_store_dwordx2 v7, v[5:6], s[4:5] offset:2048
	s_branch .LBB15_2
.LBB15_52:
	s_getpc_b64 s[4:5]
	s_add_u32 s4, s4, _ZN2at6native25elementwise_kernel_helperILb0EZZZNS0_12_GLOBAL__N_130modified_bessel_i1_kernel_cudaERNS_18TensorIteratorBaseEENKUlvE_clEvENKUlvE0_clEvEUlfE_NS0_6memory8policies11unroll_baseILi256ESt5arrayIPcLm2EE23TrivialOffsetCalculatorILi1EjESF_NS8_15LoadWithoutCastENS8_16StoreWithoutCastELi4ELi1EEEEEvT0_T1_@rel32@lo+4
	s_addc_u32 s5, s5, _ZN2at6native25elementwise_kernel_helperILb0EZZZNS0_12_GLOBAL__N_130modified_bessel_i1_kernel_cudaERNS_18TensorIteratorBaseEENKUlvE_clEvENKUlvE0_clEvEUlfE_NS0_6memory8policies11unroll_baseILi256ESt5arrayIPcLm2EE23TrivialOffsetCalculatorILi1EjESF_NS8_15LoadWithoutCastENS8_16StoreWithoutCastELi4ELi1EEEEEvT0_T1_@rel32@hi+12
	s_mov_b32 s12, s6
	v_mov_b32_e32 v31, v0
	v_mov_b32_e32 v0, s8
	;; [unrolled: 1-line block ×6, first 2 shown]
	s_swappc_b64 s[30:31], s[4:5]
	s_endpgm
	.section	.rodata,"a",@progbits
	.p2align	6, 0x0
	.amdhsa_kernel _ZN2at6native29vectorized_elementwise_kernelILi2EZZZNS0_12_GLOBAL__N_130modified_bessel_i1_kernel_cudaERNS_18TensorIteratorBaseEENKUlvE_clEvENKUlvE0_clEvEUlfE_St5arrayIPcLm2EEEEviT0_T1_
		.amdhsa_group_segment_fixed_size 0
		.amdhsa_private_segment_fixed_size 0
		.amdhsa_kernarg_size 24
		.amdhsa_user_sgpr_count 6
		.amdhsa_user_sgpr_private_segment_buffer 1
		.amdhsa_user_sgpr_dispatch_ptr 0
		.amdhsa_user_sgpr_queue_ptr 0
		.amdhsa_user_sgpr_kernarg_segment_ptr 1
		.amdhsa_user_sgpr_dispatch_id 0
		.amdhsa_user_sgpr_flat_scratch_init 0
		.amdhsa_user_sgpr_private_segment_size 0
		.amdhsa_uses_dynamic_stack 0
		.amdhsa_system_sgpr_private_segment_wavefront_offset 0
		.amdhsa_system_sgpr_workgroup_id_x 1
		.amdhsa_system_sgpr_workgroup_id_y 0
		.amdhsa_system_sgpr_workgroup_id_z 0
		.amdhsa_system_sgpr_workgroup_info 0
		.amdhsa_system_vgpr_workitem_id 0
		.amdhsa_next_free_vgpr 32
		.amdhsa_next_free_sgpr 33
		.amdhsa_reserve_vcc 1
		.amdhsa_reserve_flat_scratch 0
		.amdhsa_float_round_mode_32 0
		.amdhsa_float_round_mode_16_64 0
		.amdhsa_float_denorm_mode_32 3
		.amdhsa_float_denorm_mode_16_64 3
		.amdhsa_dx10_clamp 1
		.amdhsa_ieee_mode 1
		.amdhsa_fp16_overflow 0
		.amdhsa_exception_fp_ieee_invalid_op 0
		.amdhsa_exception_fp_denorm_src 0
		.amdhsa_exception_fp_ieee_div_zero 0
		.amdhsa_exception_fp_ieee_overflow 0
		.amdhsa_exception_fp_ieee_underflow 0
		.amdhsa_exception_fp_ieee_inexact 0
		.amdhsa_exception_int_div_zero 0
	.end_amdhsa_kernel
	.section	.text._ZN2at6native29vectorized_elementwise_kernelILi2EZZZNS0_12_GLOBAL__N_130modified_bessel_i1_kernel_cudaERNS_18TensorIteratorBaseEENKUlvE_clEvENKUlvE0_clEvEUlfE_St5arrayIPcLm2EEEEviT0_T1_,"axG",@progbits,_ZN2at6native29vectorized_elementwise_kernelILi2EZZZNS0_12_GLOBAL__N_130modified_bessel_i1_kernel_cudaERNS_18TensorIteratorBaseEENKUlvE_clEvENKUlvE0_clEvEUlfE_St5arrayIPcLm2EEEEviT0_T1_,comdat
.Lfunc_end15:
	.size	_ZN2at6native29vectorized_elementwise_kernelILi2EZZZNS0_12_GLOBAL__N_130modified_bessel_i1_kernel_cudaERNS_18TensorIteratorBaseEENKUlvE_clEvENKUlvE0_clEvEUlfE_St5arrayIPcLm2EEEEviT0_T1_, .Lfunc_end15-_ZN2at6native29vectorized_elementwise_kernelILi2EZZZNS0_12_GLOBAL__N_130modified_bessel_i1_kernel_cudaERNS_18TensorIteratorBaseEENKUlvE_clEvENKUlvE0_clEvEUlfE_St5arrayIPcLm2EEEEviT0_T1_
                                        ; -- End function
	.set _ZN2at6native29vectorized_elementwise_kernelILi2EZZZNS0_12_GLOBAL__N_130modified_bessel_i1_kernel_cudaERNS_18TensorIteratorBaseEENKUlvE_clEvENKUlvE0_clEvEUlfE_St5arrayIPcLm2EEEEviT0_T1_.num_vgpr, max(32, .L_ZN2at6native25elementwise_kernel_helperILb0EZZZNS0_12_GLOBAL__N_130modified_bessel_i1_kernel_cudaERNS_18TensorIteratorBaseEENKUlvE_clEvENKUlvE0_clEvEUlfE_NS0_6memory8policies11unroll_baseILi256ESt5arrayIPcLm2EE23TrivialOffsetCalculatorILi1EjESF_NS8_15LoadWithoutCastENS8_16StoreWithoutCastELi4ELi1EEEEEvT0_T1_.num_vgpr)
	.set _ZN2at6native29vectorized_elementwise_kernelILi2EZZZNS0_12_GLOBAL__N_130modified_bessel_i1_kernel_cudaERNS_18TensorIteratorBaseEENKUlvE_clEvENKUlvE0_clEvEUlfE_St5arrayIPcLm2EEEEviT0_T1_.num_agpr, max(0, .L_ZN2at6native25elementwise_kernel_helperILb0EZZZNS0_12_GLOBAL__N_130modified_bessel_i1_kernel_cudaERNS_18TensorIteratorBaseEENKUlvE_clEvENKUlvE0_clEvEUlfE_NS0_6memory8policies11unroll_baseILi256ESt5arrayIPcLm2EE23TrivialOffsetCalculatorILi1EjESF_NS8_15LoadWithoutCastENS8_16StoreWithoutCastELi4ELi1EEEEEvT0_T1_.num_agpr)
	.set _ZN2at6native29vectorized_elementwise_kernelILi2EZZZNS0_12_GLOBAL__N_130modified_bessel_i1_kernel_cudaERNS_18TensorIteratorBaseEENKUlvE_clEvENKUlvE0_clEvEUlfE_St5arrayIPcLm2EEEEviT0_T1_.numbered_sgpr, max(33, .L_ZN2at6native25elementwise_kernel_helperILb0EZZZNS0_12_GLOBAL__N_130modified_bessel_i1_kernel_cudaERNS_18TensorIteratorBaseEENKUlvE_clEvENKUlvE0_clEvEUlfE_NS0_6memory8policies11unroll_baseILi256ESt5arrayIPcLm2EE23TrivialOffsetCalculatorILi1EjESF_NS8_15LoadWithoutCastENS8_16StoreWithoutCastELi4ELi1EEEEEvT0_T1_.numbered_sgpr)
	.set _ZN2at6native29vectorized_elementwise_kernelILi2EZZZNS0_12_GLOBAL__N_130modified_bessel_i1_kernel_cudaERNS_18TensorIteratorBaseEENKUlvE_clEvENKUlvE0_clEvEUlfE_St5arrayIPcLm2EEEEviT0_T1_.num_named_barrier, max(0, .L_ZN2at6native25elementwise_kernel_helperILb0EZZZNS0_12_GLOBAL__N_130modified_bessel_i1_kernel_cudaERNS_18TensorIteratorBaseEENKUlvE_clEvENKUlvE0_clEvEUlfE_NS0_6memory8policies11unroll_baseILi256ESt5arrayIPcLm2EE23TrivialOffsetCalculatorILi1EjESF_NS8_15LoadWithoutCastENS8_16StoreWithoutCastELi4ELi1EEEEEvT0_T1_.num_named_barrier)
	.set _ZN2at6native29vectorized_elementwise_kernelILi2EZZZNS0_12_GLOBAL__N_130modified_bessel_i1_kernel_cudaERNS_18TensorIteratorBaseEENKUlvE_clEvENKUlvE0_clEvEUlfE_St5arrayIPcLm2EEEEviT0_T1_.private_seg_size, 0+max(.L_ZN2at6native25elementwise_kernel_helperILb0EZZZNS0_12_GLOBAL__N_130modified_bessel_i1_kernel_cudaERNS_18TensorIteratorBaseEENKUlvE_clEvENKUlvE0_clEvEUlfE_NS0_6memory8policies11unroll_baseILi256ESt5arrayIPcLm2EE23TrivialOffsetCalculatorILi1EjESF_NS8_15LoadWithoutCastENS8_16StoreWithoutCastELi4ELi1EEEEEvT0_T1_.private_seg_size)
	.set _ZN2at6native29vectorized_elementwise_kernelILi2EZZZNS0_12_GLOBAL__N_130modified_bessel_i1_kernel_cudaERNS_18TensorIteratorBaseEENKUlvE_clEvENKUlvE0_clEvEUlfE_St5arrayIPcLm2EEEEviT0_T1_.uses_vcc, or(1, .L_ZN2at6native25elementwise_kernel_helperILb0EZZZNS0_12_GLOBAL__N_130modified_bessel_i1_kernel_cudaERNS_18TensorIteratorBaseEENKUlvE_clEvENKUlvE0_clEvEUlfE_NS0_6memory8policies11unroll_baseILi256ESt5arrayIPcLm2EE23TrivialOffsetCalculatorILi1EjESF_NS8_15LoadWithoutCastENS8_16StoreWithoutCastELi4ELi1EEEEEvT0_T1_.uses_vcc)
	.set _ZN2at6native29vectorized_elementwise_kernelILi2EZZZNS0_12_GLOBAL__N_130modified_bessel_i1_kernel_cudaERNS_18TensorIteratorBaseEENKUlvE_clEvENKUlvE0_clEvEUlfE_St5arrayIPcLm2EEEEviT0_T1_.uses_flat_scratch, or(0, .L_ZN2at6native25elementwise_kernel_helperILb0EZZZNS0_12_GLOBAL__N_130modified_bessel_i1_kernel_cudaERNS_18TensorIteratorBaseEENKUlvE_clEvENKUlvE0_clEvEUlfE_NS0_6memory8policies11unroll_baseILi256ESt5arrayIPcLm2EE23TrivialOffsetCalculatorILi1EjESF_NS8_15LoadWithoutCastENS8_16StoreWithoutCastELi4ELi1EEEEEvT0_T1_.uses_flat_scratch)
	.set _ZN2at6native29vectorized_elementwise_kernelILi2EZZZNS0_12_GLOBAL__N_130modified_bessel_i1_kernel_cudaERNS_18TensorIteratorBaseEENKUlvE_clEvENKUlvE0_clEvEUlfE_St5arrayIPcLm2EEEEviT0_T1_.has_dyn_sized_stack, or(0, .L_ZN2at6native25elementwise_kernel_helperILb0EZZZNS0_12_GLOBAL__N_130modified_bessel_i1_kernel_cudaERNS_18TensorIteratorBaseEENKUlvE_clEvENKUlvE0_clEvEUlfE_NS0_6memory8policies11unroll_baseILi256ESt5arrayIPcLm2EE23TrivialOffsetCalculatorILi1EjESF_NS8_15LoadWithoutCastENS8_16StoreWithoutCastELi4ELi1EEEEEvT0_T1_.has_dyn_sized_stack)
	.set _ZN2at6native29vectorized_elementwise_kernelILi2EZZZNS0_12_GLOBAL__N_130modified_bessel_i1_kernel_cudaERNS_18TensorIteratorBaseEENKUlvE_clEvENKUlvE0_clEvEUlfE_St5arrayIPcLm2EEEEviT0_T1_.has_recursion, or(0, .L_ZN2at6native25elementwise_kernel_helperILb0EZZZNS0_12_GLOBAL__N_130modified_bessel_i1_kernel_cudaERNS_18TensorIteratorBaseEENKUlvE_clEvENKUlvE0_clEvEUlfE_NS0_6memory8policies11unroll_baseILi256ESt5arrayIPcLm2EE23TrivialOffsetCalculatorILi1EjESF_NS8_15LoadWithoutCastENS8_16StoreWithoutCastELi4ELi1EEEEEvT0_T1_.has_recursion)
	.set _ZN2at6native29vectorized_elementwise_kernelILi2EZZZNS0_12_GLOBAL__N_130modified_bessel_i1_kernel_cudaERNS_18TensorIteratorBaseEENKUlvE_clEvENKUlvE0_clEvEUlfE_St5arrayIPcLm2EEEEviT0_T1_.has_indirect_call, or(0, .L_ZN2at6native25elementwise_kernel_helperILb0EZZZNS0_12_GLOBAL__N_130modified_bessel_i1_kernel_cudaERNS_18TensorIteratorBaseEENKUlvE_clEvENKUlvE0_clEvEUlfE_NS0_6memory8policies11unroll_baseILi256ESt5arrayIPcLm2EE23TrivialOffsetCalculatorILi1EjESF_NS8_15LoadWithoutCastENS8_16StoreWithoutCastELi4ELi1EEEEEvT0_T1_.has_indirect_call)
	.section	.AMDGPU.csdata,"",@progbits
; Kernel info:
; codeLenInByte = 7072
; TotalNumSgprs: 37
; NumVgprs: 32
; ScratchSize: 0
; MemoryBound: 0
; FloatMode: 240
; IeeeMode: 1
; LDSByteSize: 0 bytes/workgroup (compile time only)
; SGPRBlocks: 4
; VGPRBlocks: 7
; NumSGPRsForWavesPerEU: 37
; NumVGPRsForWavesPerEU: 32
; Occupancy: 8
; WaveLimiterHint : 1
; COMPUTE_PGM_RSRC2:SCRATCH_EN: 0
; COMPUTE_PGM_RSRC2:USER_SGPR: 6
; COMPUTE_PGM_RSRC2:TRAP_HANDLER: 0
; COMPUTE_PGM_RSRC2:TGID_X_EN: 1
; COMPUTE_PGM_RSRC2:TGID_Y_EN: 0
; COMPUTE_PGM_RSRC2:TGID_Z_EN: 0
; COMPUTE_PGM_RSRC2:TIDIG_COMP_CNT: 0
	.section	.text._ZN2at6native27unrolled_elementwise_kernelIZZZNS0_12_GLOBAL__N_130modified_bessel_i1_kernel_cudaERNS_18TensorIteratorBaseEENKUlvE_clEvENKUlvE0_clEvEUlfE_St5arrayIPcLm2EELi4E23TrivialOffsetCalculatorILi1EjESC_NS0_6memory15LoadWithoutCastENSD_16StoreWithoutCastEEEviT_T0_T2_T3_T4_T5_,"axG",@progbits,_ZN2at6native27unrolled_elementwise_kernelIZZZNS0_12_GLOBAL__N_130modified_bessel_i1_kernel_cudaERNS_18TensorIteratorBaseEENKUlvE_clEvENKUlvE0_clEvEUlfE_St5arrayIPcLm2EELi4E23TrivialOffsetCalculatorILi1EjESC_NS0_6memory15LoadWithoutCastENSD_16StoreWithoutCastEEEviT_T0_T2_T3_T4_T5_,comdat
	.globl	_ZN2at6native27unrolled_elementwise_kernelIZZZNS0_12_GLOBAL__N_130modified_bessel_i1_kernel_cudaERNS_18TensorIteratorBaseEENKUlvE_clEvENKUlvE0_clEvEUlfE_St5arrayIPcLm2EELi4E23TrivialOffsetCalculatorILi1EjESC_NS0_6memory15LoadWithoutCastENSD_16StoreWithoutCastEEEviT_T0_T2_T3_T4_T5_ ; -- Begin function _ZN2at6native27unrolled_elementwise_kernelIZZZNS0_12_GLOBAL__N_130modified_bessel_i1_kernel_cudaERNS_18TensorIteratorBaseEENKUlvE_clEvENKUlvE0_clEvEUlfE_St5arrayIPcLm2EELi4E23TrivialOffsetCalculatorILi1EjESC_NS0_6memory15LoadWithoutCastENSD_16StoreWithoutCastEEEviT_T0_T2_T3_T4_T5_
	.p2align	8
	.type	_ZN2at6native27unrolled_elementwise_kernelIZZZNS0_12_GLOBAL__N_130modified_bessel_i1_kernel_cudaERNS_18TensorIteratorBaseEENKUlvE_clEvENKUlvE0_clEvEUlfE_St5arrayIPcLm2EELi4E23TrivialOffsetCalculatorILi1EjESC_NS0_6memory15LoadWithoutCastENSD_16StoreWithoutCastEEEviT_T0_T2_T3_T4_T5_,@function
_ZN2at6native27unrolled_elementwise_kernelIZZZNS0_12_GLOBAL__N_130modified_bessel_i1_kernel_cudaERNS_18TensorIteratorBaseEENKUlvE_clEvENKUlvE0_clEvEUlfE_St5arrayIPcLm2EELi4E23TrivialOffsetCalculatorILi1EjESC_NS0_6memory15LoadWithoutCastENSD_16StoreWithoutCastEEEviT_T0_T2_T3_T4_T5_: ; @_ZN2at6native27unrolled_elementwise_kernelIZZZNS0_12_GLOBAL__N_130modified_bessel_i1_kernel_cudaERNS_18TensorIteratorBaseEENKUlvE_clEvENKUlvE0_clEvEUlfE_St5arrayIPcLm2EELi4E23TrivialOffsetCalculatorILi1EjESC_NS0_6memory15LoadWithoutCastENSD_16StoreWithoutCastEEEviT_T0_T2_T3_T4_T5_
; %bb.0:
	s_add_u32 s0, s0, s7
	s_load_dword s7, s[4:5], 0x0
	s_load_dwordx4 s[8:11], s[4:5], 0x8
	s_addc_u32 s1, s1, 0
	s_lshl_b32 s4, s6, 10
	s_mov_b32 s12, s6
	s_waitcnt lgkmcnt(0)
	s_sub_i32 s7, s7, s4
	s_getpc_b64 s[4:5]
	s_add_u32 s4, s4, _ZN2at6native25elementwise_kernel_helperILb0EZZZNS0_12_GLOBAL__N_130modified_bessel_i1_kernel_cudaERNS_18TensorIteratorBaseEENKUlvE_clEvENKUlvE0_clEvEUlfE_NS0_6memory8policies11unroll_baseILi256ESt5arrayIPcLm2EE23TrivialOffsetCalculatorILi1EjESF_NS8_15LoadWithoutCastENS8_16StoreWithoutCastELi4ELi1EEEEEvT0_T1_@rel32@lo+4
	s_addc_u32 s5, s5, _ZN2at6native25elementwise_kernel_helperILb0EZZZNS0_12_GLOBAL__N_130modified_bessel_i1_kernel_cudaERNS_18TensorIteratorBaseEENKUlvE_clEvENKUlvE0_clEvEUlfE_NS0_6memory8policies11unroll_baseILi256ESt5arrayIPcLm2EE23TrivialOffsetCalculatorILi1EjESF_NS8_15LoadWithoutCastENS8_16StoreWithoutCastELi4ELi1EEEEEvT0_T1_@rel32@hi+12
	v_mov_b32_e32 v31, v0
	v_mov_b32_e32 v0, s8
	;; [unrolled: 1-line block ×6, first 2 shown]
	s_mov_b32 s32, 0
	s_swappc_b64 s[30:31], s[4:5]
	s_endpgm
	.section	.rodata,"a",@progbits
	.p2align	6, 0x0
	.amdhsa_kernel _ZN2at6native27unrolled_elementwise_kernelIZZZNS0_12_GLOBAL__N_130modified_bessel_i1_kernel_cudaERNS_18TensorIteratorBaseEENKUlvE_clEvENKUlvE0_clEvEUlfE_St5arrayIPcLm2EELi4E23TrivialOffsetCalculatorILi1EjESC_NS0_6memory15LoadWithoutCastENSD_16StoreWithoutCastEEEviT_T0_T2_T3_T4_T5_
		.amdhsa_group_segment_fixed_size 0
		.amdhsa_private_segment_fixed_size 0
		.amdhsa_kernarg_size 28
		.amdhsa_user_sgpr_count 6
		.amdhsa_user_sgpr_private_segment_buffer 1
		.amdhsa_user_sgpr_dispatch_ptr 0
		.amdhsa_user_sgpr_queue_ptr 0
		.amdhsa_user_sgpr_kernarg_segment_ptr 1
		.amdhsa_user_sgpr_dispatch_id 0
		.amdhsa_user_sgpr_flat_scratch_init 0
		.amdhsa_user_sgpr_private_segment_size 0
		.amdhsa_uses_dynamic_stack 0
		.amdhsa_system_sgpr_private_segment_wavefront_offset 0
		.amdhsa_system_sgpr_workgroup_id_x 1
		.amdhsa_system_sgpr_workgroup_id_y 0
		.amdhsa_system_sgpr_workgroup_id_z 0
		.amdhsa_system_sgpr_workgroup_info 0
		.amdhsa_system_vgpr_workitem_id 0
		.amdhsa_next_free_vgpr 32
		.amdhsa_next_free_sgpr 33
		.amdhsa_reserve_vcc 1
		.amdhsa_reserve_flat_scratch 0
		.amdhsa_float_round_mode_32 0
		.amdhsa_float_round_mode_16_64 0
		.amdhsa_float_denorm_mode_32 3
		.amdhsa_float_denorm_mode_16_64 3
		.amdhsa_dx10_clamp 1
		.amdhsa_ieee_mode 1
		.amdhsa_fp16_overflow 0
		.amdhsa_exception_fp_ieee_invalid_op 0
		.amdhsa_exception_fp_denorm_src 0
		.amdhsa_exception_fp_ieee_div_zero 0
		.amdhsa_exception_fp_ieee_overflow 0
		.amdhsa_exception_fp_ieee_underflow 0
		.amdhsa_exception_fp_ieee_inexact 0
		.amdhsa_exception_int_div_zero 0
	.end_amdhsa_kernel
	.section	.text._ZN2at6native27unrolled_elementwise_kernelIZZZNS0_12_GLOBAL__N_130modified_bessel_i1_kernel_cudaERNS_18TensorIteratorBaseEENKUlvE_clEvENKUlvE0_clEvEUlfE_St5arrayIPcLm2EELi4E23TrivialOffsetCalculatorILi1EjESC_NS0_6memory15LoadWithoutCastENSD_16StoreWithoutCastEEEviT_T0_T2_T3_T4_T5_,"axG",@progbits,_ZN2at6native27unrolled_elementwise_kernelIZZZNS0_12_GLOBAL__N_130modified_bessel_i1_kernel_cudaERNS_18TensorIteratorBaseEENKUlvE_clEvENKUlvE0_clEvEUlfE_St5arrayIPcLm2EELi4E23TrivialOffsetCalculatorILi1EjESC_NS0_6memory15LoadWithoutCastENSD_16StoreWithoutCastEEEviT_T0_T2_T3_T4_T5_,comdat
.Lfunc_end16:
	.size	_ZN2at6native27unrolled_elementwise_kernelIZZZNS0_12_GLOBAL__N_130modified_bessel_i1_kernel_cudaERNS_18TensorIteratorBaseEENKUlvE_clEvENKUlvE0_clEvEUlfE_St5arrayIPcLm2EELi4E23TrivialOffsetCalculatorILi1EjESC_NS0_6memory15LoadWithoutCastENSD_16StoreWithoutCastEEEviT_T0_T2_T3_T4_T5_, .Lfunc_end16-_ZN2at6native27unrolled_elementwise_kernelIZZZNS0_12_GLOBAL__N_130modified_bessel_i1_kernel_cudaERNS_18TensorIteratorBaseEENKUlvE_clEvENKUlvE0_clEvEUlfE_St5arrayIPcLm2EELi4E23TrivialOffsetCalculatorILi1EjESC_NS0_6memory15LoadWithoutCastENSD_16StoreWithoutCastEEEviT_T0_T2_T3_T4_T5_
                                        ; -- End function
	.set _ZN2at6native27unrolled_elementwise_kernelIZZZNS0_12_GLOBAL__N_130modified_bessel_i1_kernel_cudaERNS_18TensorIteratorBaseEENKUlvE_clEvENKUlvE0_clEvEUlfE_St5arrayIPcLm2EELi4E23TrivialOffsetCalculatorILi1EjESC_NS0_6memory15LoadWithoutCastENSD_16StoreWithoutCastEEEviT_T0_T2_T3_T4_T5_.num_vgpr, max(32, .L_ZN2at6native25elementwise_kernel_helperILb0EZZZNS0_12_GLOBAL__N_130modified_bessel_i1_kernel_cudaERNS_18TensorIteratorBaseEENKUlvE_clEvENKUlvE0_clEvEUlfE_NS0_6memory8policies11unroll_baseILi256ESt5arrayIPcLm2EE23TrivialOffsetCalculatorILi1EjESF_NS8_15LoadWithoutCastENS8_16StoreWithoutCastELi4ELi1EEEEEvT0_T1_.num_vgpr)
	.set _ZN2at6native27unrolled_elementwise_kernelIZZZNS0_12_GLOBAL__N_130modified_bessel_i1_kernel_cudaERNS_18TensorIteratorBaseEENKUlvE_clEvENKUlvE0_clEvEUlfE_St5arrayIPcLm2EELi4E23TrivialOffsetCalculatorILi1EjESC_NS0_6memory15LoadWithoutCastENSD_16StoreWithoutCastEEEviT_T0_T2_T3_T4_T5_.num_agpr, max(0, .L_ZN2at6native25elementwise_kernel_helperILb0EZZZNS0_12_GLOBAL__N_130modified_bessel_i1_kernel_cudaERNS_18TensorIteratorBaseEENKUlvE_clEvENKUlvE0_clEvEUlfE_NS0_6memory8policies11unroll_baseILi256ESt5arrayIPcLm2EE23TrivialOffsetCalculatorILi1EjESF_NS8_15LoadWithoutCastENS8_16StoreWithoutCastELi4ELi1EEEEEvT0_T1_.num_agpr)
	.set _ZN2at6native27unrolled_elementwise_kernelIZZZNS0_12_GLOBAL__N_130modified_bessel_i1_kernel_cudaERNS_18TensorIteratorBaseEENKUlvE_clEvENKUlvE0_clEvEUlfE_St5arrayIPcLm2EELi4E23TrivialOffsetCalculatorILi1EjESC_NS0_6memory15LoadWithoutCastENSD_16StoreWithoutCastEEEviT_T0_T2_T3_T4_T5_.numbered_sgpr, max(33, .L_ZN2at6native25elementwise_kernel_helperILb0EZZZNS0_12_GLOBAL__N_130modified_bessel_i1_kernel_cudaERNS_18TensorIteratorBaseEENKUlvE_clEvENKUlvE0_clEvEUlfE_NS0_6memory8policies11unroll_baseILi256ESt5arrayIPcLm2EE23TrivialOffsetCalculatorILi1EjESF_NS8_15LoadWithoutCastENS8_16StoreWithoutCastELi4ELi1EEEEEvT0_T1_.numbered_sgpr)
	.set _ZN2at6native27unrolled_elementwise_kernelIZZZNS0_12_GLOBAL__N_130modified_bessel_i1_kernel_cudaERNS_18TensorIteratorBaseEENKUlvE_clEvENKUlvE0_clEvEUlfE_St5arrayIPcLm2EELi4E23TrivialOffsetCalculatorILi1EjESC_NS0_6memory15LoadWithoutCastENSD_16StoreWithoutCastEEEviT_T0_T2_T3_T4_T5_.num_named_barrier, max(0, .L_ZN2at6native25elementwise_kernel_helperILb0EZZZNS0_12_GLOBAL__N_130modified_bessel_i1_kernel_cudaERNS_18TensorIteratorBaseEENKUlvE_clEvENKUlvE0_clEvEUlfE_NS0_6memory8policies11unroll_baseILi256ESt5arrayIPcLm2EE23TrivialOffsetCalculatorILi1EjESF_NS8_15LoadWithoutCastENS8_16StoreWithoutCastELi4ELi1EEEEEvT0_T1_.num_named_barrier)
	.set _ZN2at6native27unrolled_elementwise_kernelIZZZNS0_12_GLOBAL__N_130modified_bessel_i1_kernel_cudaERNS_18TensorIteratorBaseEENKUlvE_clEvENKUlvE0_clEvEUlfE_St5arrayIPcLm2EELi4E23TrivialOffsetCalculatorILi1EjESC_NS0_6memory15LoadWithoutCastENSD_16StoreWithoutCastEEEviT_T0_T2_T3_T4_T5_.private_seg_size, 0+max(.L_ZN2at6native25elementwise_kernel_helperILb0EZZZNS0_12_GLOBAL__N_130modified_bessel_i1_kernel_cudaERNS_18TensorIteratorBaseEENKUlvE_clEvENKUlvE0_clEvEUlfE_NS0_6memory8policies11unroll_baseILi256ESt5arrayIPcLm2EE23TrivialOffsetCalculatorILi1EjESF_NS8_15LoadWithoutCastENS8_16StoreWithoutCastELi4ELi1EEEEEvT0_T1_.private_seg_size)
	.set _ZN2at6native27unrolled_elementwise_kernelIZZZNS0_12_GLOBAL__N_130modified_bessel_i1_kernel_cudaERNS_18TensorIteratorBaseEENKUlvE_clEvENKUlvE0_clEvEUlfE_St5arrayIPcLm2EELi4E23TrivialOffsetCalculatorILi1EjESC_NS0_6memory15LoadWithoutCastENSD_16StoreWithoutCastEEEviT_T0_T2_T3_T4_T5_.uses_vcc, or(1, .L_ZN2at6native25elementwise_kernel_helperILb0EZZZNS0_12_GLOBAL__N_130modified_bessel_i1_kernel_cudaERNS_18TensorIteratorBaseEENKUlvE_clEvENKUlvE0_clEvEUlfE_NS0_6memory8policies11unroll_baseILi256ESt5arrayIPcLm2EE23TrivialOffsetCalculatorILi1EjESF_NS8_15LoadWithoutCastENS8_16StoreWithoutCastELi4ELi1EEEEEvT0_T1_.uses_vcc)
	.set _ZN2at6native27unrolled_elementwise_kernelIZZZNS0_12_GLOBAL__N_130modified_bessel_i1_kernel_cudaERNS_18TensorIteratorBaseEENKUlvE_clEvENKUlvE0_clEvEUlfE_St5arrayIPcLm2EELi4E23TrivialOffsetCalculatorILi1EjESC_NS0_6memory15LoadWithoutCastENSD_16StoreWithoutCastEEEviT_T0_T2_T3_T4_T5_.uses_flat_scratch, or(0, .L_ZN2at6native25elementwise_kernel_helperILb0EZZZNS0_12_GLOBAL__N_130modified_bessel_i1_kernel_cudaERNS_18TensorIteratorBaseEENKUlvE_clEvENKUlvE0_clEvEUlfE_NS0_6memory8policies11unroll_baseILi256ESt5arrayIPcLm2EE23TrivialOffsetCalculatorILi1EjESF_NS8_15LoadWithoutCastENS8_16StoreWithoutCastELi4ELi1EEEEEvT0_T1_.uses_flat_scratch)
	.set _ZN2at6native27unrolled_elementwise_kernelIZZZNS0_12_GLOBAL__N_130modified_bessel_i1_kernel_cudaERNS_18TensorIteratorBaseEENKUlvE_clEvENKUlvE0_clEvEUlfE_St5arrayIPcLm2EELi4E23TrivialOffsetCalculatorILi1EjESC_NS0_6memory15LoadWithoutCastENSD_16StoreWithoutCastEEEviT_T0_T2_T3_T4_T5_.has_dyn_sized_stack, or(0, .L_ZN2at6native25elementwise_kernel_helperILb0EZZZNS0_12_GLOBAL__N_130modified_bessel_i1_kernel_cudaERNS_18TensorIteratorBaseEENKUlvE_clEvENKUlvE0_clEvEUlfE_NS0_6memory8policies11unroll_baseILi256ESt5arrayIPcLm2EE23TrivialOffsetCalculatorILi1EjESF_NS8_15LoadWithoutCastENS8_16StoreWithoutCastELi4ELi1EEEEEvT0_T1_.has_dyn_sized_stack)
	.set _ZN2at6native27unrolled_elementwise_kernelIZZZNS0_12_GLOBAL__N_130modified_bessel_i1_kernel_cudaERNS_18TensorIteratorBaseEENKUlvE_clEvENKUlvE0_clEvEUlfE_St5arrayIPcLm2EELi4E23TrivialOffsetCalculatorILi1EjESC_NS0_6memory15LoadWithoutCastENSD_16StoreWithoutCastEEEviT_T0_T2_T3_T4_T5_.has_recursion, or(0, .L_ZN2at6native25elementwise_kernel_helperILb0EZZZNS0_12_GLOBAL__N_130modified_bessel_i1_kernel_cudaERNS_18TensorIteratorBaseEENKUlvE_clEvENKUlvE0_clEvEUlfE_NS0_6memory8policies11unroll_baseILi256ESt5arrayIPcLm2EE23TrivialOffsetCalculatorILi1EjESF_NS8_15LoadWithoutCastENS8_16StoreWithoutCastELi4ELi1EEEEEvT0_T1_.has_recursion)
	.set _ZN2at6native27unrolled_elementwise_kernelIZZZNS0_12_GLOBAL__N_130modified_bessel_i1_kernel_cudaERNS_18TensorIteratorBaseEENKUlvE_clEvENKUlvE0_clEvEUlfE_St5arrayIPcLm2EELi4E23TrivialOffsetCalculatorILi1EjESC_NS0_6memory15LoadWithoutCastENSD_16StoreWithoutCastEEEviT_T0_T2_T3_T4_T5_.has_indirect_call, or(0, .L_ZN2at6native25elementwise_kernel_helperILb0EZZZNS0_12_GLOBAL__N_130modified_bessel_i1_kernel_cudaERNS_18TensorIteratorBaseEENKUlvE_clEvENKUlvE0_clEvEUlfE_NS0_6memory8policies11unroll_baseILi256ESt5arrayIPcLm2EE23TrivialOffsetCalculatorILi1EjESF_NS8_15LoadWithoutCastENS8_16StoreWithoutCastELi4ELi1EEEEEvT0_T1_.has_indirect_call)
	.section	.AMDGPU.csdata,"",@progbits
; Kernel info:
; codeLenInByte = 96
; TotalNumSgprs: 37
; NumVgprs: 32
; ScratchSize: 0
; MemoryBound: 0
; FloatMode: 240
; IeeeMode: 1
; LDSByteSize: 0 bytes/workgroup (compile time only)
; SGPRBlocks: 4
; VGPRBlocks: 7
; NumSGPRsForWavesPerEU: 37
; NumVGPRsForWavesPerEU: 32
; Occupancy: 8
; WaveLimiterHint : 0
; COMPUTE_PGM_RSRC2:SCRATCH_EN: 0
; COMPUTE_PGM_RSRC2:USER_SGPR: 6
; COMPUTE_PGM_RSRC2:TRAP_HANDLER: 0
; COMPUTE_PGM_RSRC2:TGID_X_EN: 1
; COMPUTE_PGM_RSRC2:TGID_Y_EN: 0
; COMPUTE_PGM_RSRC2:TGID_Z_EN: 0
; COMPUTE_PGM_RSRC2:TIDIG_COMP_CNT: 0
	.section	.text._ZN2at6native32elementwise_kernel_manual_unrollILi128ELi4EZNS0_22gpu_kernel_impl_nocastIZZZNS0_12_GLOBAL__N_130modified_bessel_i1_kernel_cudaERNS_18TensorIteratorBaseEENKUlvE_clEvENKUlvE0_clEvEUlfE_EEvS5_RKT_EUlibE_EEviT1_,"axG",@progbits,_ZN2at6native32elementwise_kernel_manual_unrollILi128ELi4EZNS0_22gpu_kernel_impl_nocastIZZZNS0_12_GLOBAL__N_130modified_bessel_i1_kernel_cudaERNS_18TensorIteratorBaseEENKUlvE_clEvENKUlvE0_clEvEUlfE_EEvS5_RKT_EUlibE_EEviT1_,comdat
	.globl	_ZN2at6native32elementwise_kernel_manual_unrollILi128ELi4EZNS0_22gpu_kernel_impl_nocastIZZZNS0_12_GLOBAL__N_130modified_bessel_i1_kernel_cudaERNS_18TensorIteratorBaseEENKUlvE_clEvENKUlvE0_clEvEUlfE_EEvS5_RKT_EUlibE_EEviT1_ ; -- Begin function _ZN2at6native32elementwise_kernel_manual_unrollILi128ELi4EZNS0_22gpu_kernel_impl_nocastIZZZNS0_12_GLOBAL__N_130modified_bessel_i1_kernel_cudaERNS_18TensorIteratorBaseEENKUlvE_clEvENKUlvE0_clEvEUlfE_EEvS5_RKT_EUlibE_EEviT1_
	.p2align	8
	.type	_ZN2at6native32elementwise_kernel_manual_unrollILi128ELi4EZNS0_22gpu_kernel_impl_nocastIZZZNS0_12_GLOBAL__N_130modified_bessel_i1_kernel_cudaERNS_18TensorIteratorBaseEENKUlvE_clEvENKUlvE0_clEvEUlfE_EEvS5_RKT_EUlibE_EEviT1_,@function
_ZN2at6native32elementwise_kernel_manual_unrollILi128ELi4EZNS0_22gpu_kernel_impl_nocastIZZZNS0_12_GLOBAL__N_130modified_bessel_i1_kernel_cudaERNS_18TensorIteratorBaseEENKUlvE_clEvENKUlvE0_clEvEUlfE_EEvS5_RKT_EUlibE_EEviT1_: ; @_ZN2at6native32elementwise_kernel_manual_unrollILi128ELi4EZNS0_22gpu_kernel_impl_nocastIZZZNS0_12_GLOBAL__N_130modified_bessel_i1_kernel_cudaERNS_18TensorIteratorBaseEENKUlvE_clEvENKUlvE0_clEvEUlfE_EEvS5_RKT_EUlibE_EEviT1_
; %bb.0:
	s_load_dword s55, s[4:5], 0x0
	s_load_dword s33, s[4:5], 0x8
	s_add_u32 s34, s4, 8
	s_addc_u32 s35, s5, 0
	v_lshl_or_b32 v4, s6, 9, v0
	v_or_b32_e32 v13, 0x180, v4
	s_waitcnt lgkmcnt(0)
	s_add_i32 s54, s33, -1
	s_cmp_gt_u32 s54, 1
	v_cmp_le_i32_e32 vcc, s55, v13
	s_cselect_b64 s[36:37], -1, 0
	s_and_saveexec_b64 s[0:1], vcc
	s_xor_b64 s[38:39], exec, s[0:1]
	s_cbranch_execz .LBB17_7
; %bb.1:
	s_load_dwordx4 s[24:27], s[34:35], 0x4
	s_load_dwordx2 s[40:41], s[34:35], 0x14
	s_load_dwordx4 s[20:23], s[34:35], 0xc4
	s_load_dwordx4 s[16:19], s[34:35], 0x148
	s_cmp_lg_u32 s33, 0
	s_cselect_b64 s[46:47], -1, 0
	s_add_u32 s44, s34, 0xc4
	s_addc_u32 s45, s35, 0
	s_min_u32 s56, s54, 15
	s_cmp_gt_u32 s33, 1
	s_cselect_b64 s[42:43], -1, 0
	v_cmp_gt_i32_e32 vcc, s55, v4
	s_and_saveexec_b64 s[48:49], vcc
	s_cbranch_execz .LBB17_14
; %bb.2:
	s_andn2_b64 vcc, exec, s[36:37]
	s_cbranch_vccnz .LBB17_21
; %bb.3:
	s_andn2_b64 vcc, exec, s[46:47]
	s_cbranch_vccnz .LBB17_121
; %bb.4:
	s_add_i32 s58, s56, 1
	s_cmp_eq_u32 s54, 2
	s_cbranch_scc1 .LBB17_123
; %bb.5:
	s_and_b32 s57, s58, 28
	v_mov_b32_e32 v2, 0
	s_mov_b32 s59, 0
	s_mov_b64 s[50:51], s[34:35]
	s_mov_b64 s[52:53], s[44:45]
	v_mov_b32_e32 v0, 0
	v_mov_b32_e32 v1, v4
.LBB17_6:                               ; =>This Inner Loop Header: Depth=1
	s_load_dwordx8 s[8:15], s[50:51], 0x4
	s_load_dwordx4 s[28:31], s[50:51], 0x24
	s_load_dwordx8 s[0:7], s[52:53], 0x0
	s_add_u32 s50, s50, 48
	s_addc_u32 s51, s51, 0
	s_waitcnt lgkmcnt(0)
	v_mul_hi_u32 v3, s9, v1
	s_add_i32 s59, s59, 4
	s_add_u32 s52, s52, 32
	s_addc_u32 s53, s53, 0
	v_add_u32_e32 v3, v1, v3
	v_lshrrev_b32_e32 v3, s10, v3
	v_mul_lo_u32 v5, v3, s8
	v_mul_hi_u32 v6, s12, v3
	s_cmp_lg_u32 s57, s59
	v_sub_u32_e32 v1, v1, v5
	v_add_u32_e32 v5, v3, v6
	v_mul_lo_u32 v6, v1, s0
	v_mul_lo_u32 v7, v1, s1
	v_lshrrev_b32_e32 v1, s13, v5
	v_mul_lo_u32 v5, v1, s11
	v_mul_hi_u32 v8, s15, v1
	v_sub_u32_e32 v3, v3, v5
	v_add_u32_e32 v5, v1, v8
	v_lshrrev_b32_e32 v5, s28, v5
	v_mul_hi_u32 v9, s30, v5
	v_mul_lo_u32 v10, v5, s14
	v_mul_lo_u32 v8, v3, s2
	;; [unrolled: 1-line block ×3, first 2 shown]
	v_sub_u32_e32 v10, v1, v10
	v_add_u32_e32 v1, v5, v9
	v_lshrrev_b32_e32 v1, s31, v1
	v_mul_lo_u32 v9, v1, s29
	v_mul_lo_u32 v11, v10, s4
	;; [unrolled: 1-line block ×3, first 2 shown]
	v_add3_u32 v0, v6, v0, v8
	v_sub_u32_e32 v5, v5, v9
	v_mul_lo_u32 v9, v5, s6
	v_mul_lo_u32 v5, v5, s7
	v_add3_u32 v2, v7, v2, v3
	v_add3_u32 v0, v11, v0, v9
	;; [unrolled: 1-line block ×3, first 2 shown]
	s_cbranch_scc1 .LBB17_6
	s_branch .LBB17_124
.LBB17_7:
	s_andn2_saveexec_b64 s[0:1], s[38:39]
	s_cbranch_execz .LBB17_173
.LBB17_8:
	v_cndmask_b32_e64 v0, 0, 1, s[36:37]
	v_cmp_ne_u32_e64 s[0:1], 1, v0
	s_andn2_b64 vcc, exec, s[36:37]
	s_cbranch_vccnz .LBB17_20
; %bb.9:
	s_cmp_lg_u32 s33, 0
	s_waitcnt lgkmcnt(0)
	s_mov_b32 s26, 0
	s_cbranch_scc0 .LBB17_23
; %bb.10:
	s_min_u32 s27, s54, 15
	s_add_i32 s27, s27, 1
	s_cmp_eq_u32 s54, 2
	s_cbranch_scc1 .LBB17_24
; %bb.11:
	s_and_b32 s26, s27, 28
	s_add_u32 s2, s34, 0xc4
	s_addc_u32 s3, s35, 0
	v_mov_b32_e32 v11, 0
	s_mov_b32 s28, 0
	s_mov_b64 s[24:25], s[34:35]
	v_mov_b32_e32 v0, 0
	v_mov_b32_e32 v1, v4
.LBB17_12:                              ; =>This Inner Loop Header: Depth=1
	s_load_dwordx8 s[12:19], s[24:25], 0x4
	s_load_dwordx4 s[20:23], s[24:25], 0x24
	s_load_dwordx8 s[4:11], s[2:3], 0x0
	s_add_u32 s24, s24, 48
	s_addc_u32 s25, s25, 0
	s_waitcnt lgkmcnt(0)
	v_mul_hi_u32 v2, s13, v1
	s_add_i32 s28, s28, 4
	s_add_u32 s2, s2, 32
	s_addc_u32 s3, s3, 0
	v_add_u32_e32 v2, v1, v2
	v_lshrrev_b32_e32 v2, s14, v2
	v_mul_lo_u32 v3, v2, s12
	v_mul_hi_u32 v5, s16, v2
	s_cmp_lg_u32 s26, s28
	v_sub_u32_e32 v1, v1, v3
	v_add_u32_e32 v3, v2, v5
	v_mul_lo_u32 v5, v1, s4
	v_mul_lo_u32 v6, v1, s5
	v_lshrrev_b32_e32 v1, s17, v3
	v_mul_lo_u32 v3, v1, s15
	v_mul_hi_u32 v7, s19, v1
	v_sub_u32_e32 v2, v2, v3
	v_add_u32_e32 v3, v1, v7
	v_lshrrev_b32_e32 v3, s20, v3
	v_mul_hi_u32 v8, s22, v3
	v_mul_lo_u32 v9, v3, s18
	v_mul_lo_u32 v7, v2, s6
	;; [unrolled: 1-line block ×3, first 2 shown]
	v_sub_u32_e32 v9, v1, v9
	v_add_u32_e32 v1, v3, v8
	v_lshrrev_b32_e32 v1, s23, v1
	v_mul_lo_u32 v8, v1, s21
	v_mul_lo_u32 v10, v9, s8
	;; [unrolled: 1-line block ×3, first 2 shown]
	v_add3_u32 v0, v5, v0, v7
	v_sub_u32_e32 v3, v3, v8
	v_mul_lo_u32 v8, v3, s10
	v_mul_lo_u32 v3, v3, s11
	v_add3_u32 v2, v6, v11, v2
	v_add3_u32 v0, v10, v0, v8
	;; [unrolled: 1-line block ×3, first 2 shown]
	s_cbranch_scc1 .LBB17_12
; %bb.13:
	s_and_b32 s6, s27, 3
	s_cmp_eq_u32 s6, 0
	s_cbranch_scc0 .LBB17_25
	s_branch .LBB17_27
.LBB17_14:
	s_or_b64 exec, exec, s[48:49]
	v_cmp_gt_i32_e32 vcc, s55, v4
	s_and_saveexec_b64 s[48:49], vcc
	s_cbranch_execz .LBB17_143
.LBB17_15:
	s_andn2_b64 vcc, exec, s[36:37]
	s_cbranch_vccnz .LBB17_22
; %bb.16:
	s_andn2_b64 vcc, exec, s[46:47]
	s_cbranch_vccnz .LBB17_122
; %bb.17:
	s_add_i32 s58, s56, 1
	s_cmp_eq_u32 s54, 2
	s_cbranch_scc1 .LBB17_151
; %bb.18:
	s_and_b32 s57, s58, 28
	v_mov_b32_e32 v2, 0
	s_mov_b32 s59, 0
	s_mov_b64 s[50:51], s[34:35]
	s_mov_b64 s[52:53], s[44:45]
	v_mov_b32_e32 v0, 0
	v_mov_b32_e32 v1, v4
.LBB17_19:                              ; =>This Inner Loop Header: Depth=1
	s_load_dwordx8 s[8:15], s[50:51], 0x4
	s_load_dwordx4 s[28:31], s[50:51], 0x24
	s_load_dwordx8 s[0:7], s[52:53], 0x0
	s_add_u32 s50, s50, 48
	s_addc_u32 s51, s51, 0
	s_waitcnt lgkmcnt(0)
	v_mul_hi_u32 v3, s9, v1
	s_add_i32 s59, s59, 4
	s_add_u32 s52, s52, 32
	s_addc_u32 s53, s53, 0
	v_add_u32_e32 v3, v1, v3
	v_lshrrev_b32_e32 v3, s10, v3
	v_mul_lo_u32 v5, v3, s8
	v_mul_hi_u32 v6, s12, v3
	s_cmp_eq_u32 s57, s59
	v_sub_u32_e32 v1, v1, v5
	v_add_u32_e32 v5, v3, v6
	v_mul_lo_u32 v6, v1, s0
	v_mul_lo_u32 v7, v1, s1
	v_lshrrev_b32_e32 v1, s13, v5
	v_mul_lo_u32 v5, v1, s11
	v_mul_hi_u32 v8, s15, v1
	v_sub_u32_e32 v3, v3, v5
	v_add_u32_e32 v5, v1, v8
	v_lshrrev_b32_e32 v5, s28, v5
	v_mul_hi_u32 v9, s30, v5
	v_mul_lo_u32 v10, v5, s14
	v_mul_lo_u32 v8, v3, s2
	;; [unrolled: 1-line block ×3, first 2 shown]
	v_sub_u32_e32 v10, v1, v10
	v_add_u32_e32 v1, v5, v9
	v_lshrrev_b32_e32 v1, s31, v1
	v_mul_lo_u32 v9, v1, s29
	v_mul_lo_u32 v11, v10, s4
	;; [unrolled: 1-line block ×3, first 2 shown]
	v_add3_u32 v0, v6, v0, v8
	v_sub_u32_e32 v5, v5, v9
	v_mul_lo_u32 v9, v5, s6
	v_mul_lo_u32 v5, v5, s7
	v_add3_u32 v2, v7, v2, v3
	v_add3_u32 v0, v11, v0, v9
	v_add3_u32 v2, v10, v2, v5
	s_cbranch_scc0 .LBB17_19
	s_branch .LBB17_152
.LBB17_20:
                                        ; implicit-def: $vgpr0
                                        ; implicit-def: $vgpr11
	s_branch .LBB17_28
.LBB17_21:
                                        ; implicit-def: $vgpr0
                                        ; implicit-def: $vgpr2
	s_branch .LBB17_128
.LBB17_22:
                                        ; implicit-def: $vgpr0
                                        ; implicit-def: $vgpr2
	s_branch .LBB17_156
.LBB17_23:
	v_mov_b32_e32 v0, 0
	v_mov_b32_e32 v11, 0
	s_branch .LBB17_27
.LBB17_24:
	v_mov_b32_e32 v0, 0
	v_mov_b32_e32 v11, 0
	;; [unrolled: 1-line block ×3, first 2 shown]
	s_and_b32 s6, s27, 3
	s_cmp_eq_u32 s6, 0
	s_cbranch_scc1 .LBB17_27
.LBB17_25:
	s_lshl_b32 s2, s26, 3
	s_add_u32 s2, s34, s2
	s_addc_u32 s3, s35, 0
	s_add_u32 s2, s2, 0xc4
	s_addc_u32 s3, s3, 0
	s_mul_i32 s4, s26, 12
	s_add_u32 s4, s34, s4
	s_addc_u32 s5, s35, 0
.LBB17_26:                              ; =>This Inner Loop Header: Depth=1
	s_load_dwordx2 s[8:9], s[4:5], 0x4
	s_load_dword s7, s[4:5], 0xc
	s_load_dwordx2 s[10:11], s[2:3], 0x0
	s_add_u32 s4, s4, 12
	s_addc_u32 s5, s5, 0
	s_waitcnt lgkmcnt(0)
	v_mul_hi_u32 v2, s9, v1
	s_add_u32 s2, s2, 8
	s_addc_u32 s3, s3, 0
	s_add_i32 s6, s6, -1
	v_add_u32_e32 v2, v1, v2
	v_lshrrev_b32_e32 v2, s7, v2
	v_mul_lo_u32 v3, v2, s8
	s_cmp_lg_u32 s6, 0
	v_sub_u32_e32 v3, v1, v3
	v_mad_u64_u32 v[0:1], s[8:9], v3, s10, v[0:1]
	v_mad_u64_u32 v[11:12], s[8:9], v3, s11, v[11:12]
	v_mov_b32_e32 v1, v2
	s_cbranch_scc1 .LBB17_26
.LBB17_27:
	s_cbranch_execnz .LBB17_30
.LBB17_28:
	s_load_dwordx4 s[4:7], s[34:35], 0x4
	s_load_dwordx2 s[2:3], s[34:35], 0xc4
	s_cmp_lt_u32 s33, 2
	s_waitcnt lgkmcnt(0)
	v_mul_hi_u32 v0, s5, v4
	v_add_u32_e32 v0, v4, v0
	v_lshrrev_b32_e32 v1, s6, v0
	v_mul_lo_u32 v0, v1, s4
	v_sub_u32_e32 v2, v4, v0
	v_mul_lo_u32 v0, v2, s2
	v_mul_lo_u32 v11, v2, s3
	s_cbranch_scc1 .LBB17_30
; %bb.29:
	s_load_dwordx4 s[4:7], s[34:35], 0x10
	s_load_dwordx2 s[2:3], s[34:35], 0xcc
	s_waitcnt lgkmcnt(0)
	v_mul_hi_u32 v2, s5, v1
	v_add_u32_e32 v2, v1, v2
	v_lshrrev_b32_e32 v2, s6, v2
	v_mul_lo_u32 v2, v2, s4
	v_sub_u32_e32 v2, v1, v2
	v_mad_u64_u32 v[0:1], s[4:5], v2, s2, v[0:1]
	v_mad_u64_u32 v[11:12], s[2:3], v2, s3, v[11:12]
.LBB17_30:
	s_and_b64 vcc, exec, s[0:1]
	v_add_u32_e32 v3, 0x80, v4
	s_cbranch_vccnz .LBB17_36
; %bb.31:
	s_cmp_lg_u32 s33, 0
	s_waitcnt lgkmcnt(0)
	s_mov_b32 s26, 0
	s_cbranch_scc0 .LBB17_37
; %bb.32:
	s_min_u32 s27, s54, 15
	s_add_i32 s27, s27, 1
	s_cmp_eq_u32 s54, 2
	s_cbranch_scc1 .LBB17_38
; %bb.33:
	s_and_b32 s26, s27, 28
	s_add_u32 s2, s34, 0xc4
	s_addc_u32 s3, s35, 0
	v_mov_b32_e32 v9, 0
	s_mov_b32 s28, 0
	s_mov_b64 s[24:25], s[34:35]
	v_mov_b32_e32 v1, 0
	v_mov_b32_e32 v2, v3
.LBB17_34:                              ; =>This Inner Loop Header: Depth=1
	s_load_dwordx8 s[12:19], s[24:25], 0x4
	s_load_dwordx4 s[20:23], s[24:25], 0x24
	s_load_dwordx8 s[4:11], s[2:3], 0x0
	s_add_u32 s24, s24, 48
	s_addc_u32 s25, s25, 0
	s_waitcnt lgkmcnt(0)
	v_mul_hi_u32 v5, s13, v2
	s_add_i32 s28, s28, 4
	s_add_u32 s2, s2, 32
	s_addc_u32 s3, s3, 0
	v_add_u32_e32 v5, v2, v5
	v_lshrrev_b32_e32 v5, s14, v5
	v_mul_lo_u32 v6, v5, s12
	v_mul_hi_u32 v7, s16, v5
	s_cmp_lg_u32 s26, s28
	v_sub_u32_e32 v2, v2, v6
	v_add_u32_e32 v6, v5, v7
	v_mul_lo_u32 v7, v2, s4
	v_mul_lo_u32 v8, v2, s5
	v_lshrrev_b32_e32 v2, s17, v6
	v_mul_lo_u32 v6, v2, s15
	v_mul_hi_u32 v10, s19, v2
	v_sub_u32_e32 v5, v5, v6
	v_add_u32_e32 v6, v2, v10
	v_lshrrev_b32_e32 v6, s20, v6
	v_mul_hi_u32 v12, s22, v6
	v_mul_lo_u32 v14, v6, s18
	v_mul_lo_u32 v10, v5, s6
	;; [unrolled: 1-line block ×3, first 2 shown]
	v_sub_u32_e32 v14, v2, v14
	v_add_u32_e32 v2, v6, v12
	v_lshrrev_b32_e32 v2, s23, v2
	v_mul_lo_u32 v12, v2, s21
	v_mul_lo_u32 v15, v14, s8
	;; [unrolled: 1-line block ×3, first 2 shown]
	v_add3_u32 v1, v7, v1, v10
	v_sub_u32_e32 v6, v6, v12
	v_mul_lo_u32 v12, v6, s10
	v_mul_lo_u32 v6, v6, s11
	v_add3_u32 v5, v8, v9, v5
	v_add3_u32 v1, v15, v1, v12
	;; [unrolled: 1-line block ×3, first 2 shown]
	s_cbranch_scc1 .LBB17_34
; %bb.35:
	s_and_b32 s6, s27, 3
	s_cmp_eq_u32 s6, 0
	s_cbranch_scc0 .LBB17_39
	s_branch .LBB17_41
.LBB17_36:
                                        ; implicit-def: $vgpr1
                                        ; implicit-def: $vgpr9
	s_branch .LBB17_42
.LBB17_37:
	v_mov_b32_e32 v1, 0
	v_mov_b32_e32 v9, 0
	s_branch .LBB17_41
.LBB17_38:
	v_mov_b32_e32 v1, 0
	v_mov_b32_e32 v9, 0
	v_mov_b32_e32 v2, v3
	s_and_b32 s6, s27, 3
	s_cmp_eq_u32 s6, 0
	s_cbranch_scc1 .LBB17_41
.LBB17_39:
	s_lshl_b32 s2, s26, 3
	s_add_u32 s2, s34, s2
	s_addc_u32 s3, s35, 0
	s_add_u32 s2, s2, 0xc4
	s_addc_u32 s3, s3, 0
	s_mul_i32 s4, s26, 12
	s_add_u32 s4, s34, s4
	s_addc_u32 s5, s35, 0
.LBB17_40:                              ; =>This Inner Loop Header: Depth=1
	s_load_dwordx2 s[8:9], s[4:5], 0x4
	s_load_dword s7, s[4:5], 0xc
	s_load_dwordx2 s[10:11], s[2:3], 0x0
	s_add_u32 s4, s4, 12
	s_addc_u32 s5, s5, 0
	s_waitcnt lgkmcnt(0)
	v_mul_hi_u32 v5, s9, v2
	s_add_u32 s2, s2, 8
	s_addc_u32 s3, s3, 0
	s_add_i32 s6, s6, -1
	v_add_u32_e32 v5, v2, v5
	v_lshrrev_b32_e32 v5, s7, v5
	v_mul_lo_u32 v6, v5, s8
	s_cmp_lg_u32 s6, 0
	v_sub_u32_e32 v6, v2, v6
	v_mad_u64_u32 v[1:2], s[8:9], v6, s10, v[1:2]
	v_mad_u64_u32 v[9:10], s[8:9], v6, s11, v[9:10]
	v_mov_b32_e32 v2, v5
	s_cbranch_scc1 .LBB17_40
.LBB17_41:
	s_cbranch_execnz .LBB17_44
.LBB17_42:
	s_load_dwordx4 s[4:7], s[34:35], 0x4
	s_load_dwordx2 s[2:3], s[34:35], 0xc4
	s_cmp_lt_u32 s33, 2
	s_waitcnt lgkmcnt(0)
	v_mul_hi_u32 v1, s5, v3
	v_add_u32_e32 v1, v3, v1
	v_lshrrev_b32_e32 v2, s6, v1
	v_mul_lo_u32 v1, v2, s4
	v_sub_u32_e32 v3, v3, v1
	v_mul_lo_u32 v1, v3, s2
	v_mul_lo_u32 v9, v3, s3
	s_cbranch_scc1 .LBB17_44
; %bb.43:
	s_load_dwordx4 s[4:7], s[34:35], 0x10
	s_load_dwordx2 s[2:3], s[34:35], 0xcc
	s_waitcnt lgkmcnt(0)
	v_mul_hi_u32 v3, s5, v2
	v_add_u32_e32 v3, v2, v3
	v_lshrrev_b32_e32 v3, s6, v3
	v_mul_lo_u32 v3, v3, s4
	v_sub_u32_e32 v3, v2, v3
	v_mad_u64_u32 v[1:2], s[4:5], v3, s2, v[1:2]
	v_mad_u64_u32 v[9:10], s[2:3], v3, s3, v[9:10]
.LBB17_44:
	s_and_b64 vcc, exec, s[0:1]
	v_add_u32_e32 v4, 0x100, v4
	s_cbranch_vccnz .LBB17_50
; %bb.45:
	s_cmp_lg_u32 s33, 0
	s_waitcnt lgkmcnt(0)
	s_mov_b32 s26, 0
	s_cbranch_scc0 .LBB17_51
; %bb.46:
	s_min_u32 s27, s54, 15
	s_add_i32 s27, s27, 1
	s_cmp_eq_u32 s54, 2
	s_cbranch_scc1 .LBB17_52
; %bb.47:
	s_and_b32 s26, s27, 28
	s_add_u32 s2, s34, 0xc4
	s_addc_u32 s3, s35, 0
	v_mov_b32_e32 v7, 0
	s_mov_b32 s28, 0
	s_mov_b64 s[24:25], s[34:35]
	v_mov_b32_e32 v2, 0
	v_mov_b32_e32 v3, v4
.LBB17_48:                              ; =>This Inner Loop Header: Depth=1
	s_load_dwordx8 s[12:19], s[24:25], 0x4
	s_load_dwordx4 s[20:23], s[24:25], 0x24
	s_load_dwordx8 s[4:11], s[2:3], 0x0
	s_add_u32 s24, s24, 48
	s_addc_u32 s25, s25, 0
	s_waitcnt lgkmcnt(0)
	v_mul_hi_u32 v5, s13, v3
	s_add_i32 s28, s28, 4
	s_add_u32 s2, s2, 32
	s_addc_u32 s3, s3, 0
	v_add_u32_e32 v5, v3, v5
	v_lshrrev_b32_e32 v5, s14, v5
	v_mul_lo_u32 v6, v5, s12
	v_mul_hi_u32 v8, s16, v5
	s_cmp_lg_u32 s26, s28
	v_sub_u32_e32 v3, v3, v6
	v_add_u32_e32 v6, v5, v8
	v_mul_lo_u32 v8, v3, s4
	v_mul_lo_u32 v10, v3, s5
	v_lshrrev_b32_e32 v3, s17, v6
	v_mul_lo_u32 v6, v3, s15
	v_mul_hi_u32 v12, s19, v3
	v_sub_u32_e32 v5, v5, v6
	v_add_u32_e32 v6, v3, v12
	v_lshrrev_b32_e32 v6, s20, v6
	v_mul_hi_u32 v14, s22, v6
	v_mul_lo_u32 v15, v6, s18
	v_mul_lo_u32 v12, v5, s6
	;; [unrolled: 1-line block ×3, first 2 shown]
	v_sub_u32_e32 v15, v3, v15
	v_add_u32_e32 v3, v6, v14
	v_lshrrev_b32_e32 v3, s23, v3
	v_mul_lo_u32 v14, v3, s21
	v_mul_lo_u32 v16, v15, s8
	;; [unrolled: 1-line block ×3, first 2 shown]
	v_add3_u32 v2, v8, v2, v12
	v_sub_u32_e32 v6, v6, v14
	v_mul_lo_u32 v14, v6, s10
	v_mul_lo_u32 v6, v6, s11
	v_add3_u32 v5, v10, v7, v5
	v_add3_u32 v2, v16, v2, v14
	;; [unrolled: 1-line block ×3, first 2 shown]
	s_cbranch_scc1 .LBB17_48
; %bb.49:
	s_and_b32 s6, s27, 3
	s_cmp_eq_u32 s6, 0
	s_cbranch_scc0 .LBB17_53
	s_branch .LBB17_55
.LBB17_50:
                                        ; implicit-def: $vgpr2
                                        ; implicit-def: $vgpr7
	s_branch .LBB17_56
.LBB17_51:
	v_mov_b32_e32 v2, 0
	v_mov_b32_e32 v7, 0
	s_branch .LBB17_55
.LBB17_52:
	v_mov_b32_e32 v2, 0
	v_mov_b32_e32 v7, 0
	;; [unrolled: 1-line block ×3, first 2 shown]
	s_and_b32 s6, s27, 3
	s_cmp_eq_u32 s6, 0
	s_cbranch_scc1 .LBB17_55
.LBB17_53:
	s_lshl_b32 s2, s26, 3
	s_add_u32 s2, s34, s2
	s_addc_u32 s3, s35, 0
	s_add_u32 s2, s2, 0xc4
	s_addc_u32 s3, s3, 0
	s_mul_i32 s4, s26, 12
	s_add_u32 s4, s34, s4
	s_addc_u32 s5, s35, 0
.LBB17_54:                              ; =>This Inner Loop Header: Depth=1
	s_load_dwordx2 s[8:9], s[4:5], 0x4
	s_load_dword s7, s[4:5], 0xc
	s_load_dwordx2 s[10:11], s[2:3], 0x0
	s_add_u32 s4, s4, 12
	s_addc_u32 s5, s5, 0
	s_waitcnt lgkmcnt(0)
	v_mul_hi_u32 v5, s9, v3
	s_add_u32 s2, s2, 8
	s_addc_u32 s3, s3, 0
	s_add_i32 s6, s6, -1
	v_add_u32_e32 v5, v3, v5
	v_lshrrev_b32_e32 v5, s7, v5
	v_mul_lo_u32 v6, v5, s8
	s_cmp_lg_u32 s6, 0
	v_sub_u32_e32 v6, v3, v6
	v_mad_u64_u32 v[2:3], s[8:9], v6, s10, v[2:3]
	v_mad_u64_u32 v[7:8], s[8:9], v6, s11, v[7:8]
	v_mov_b32_e32 v3, v5
	s_cbranch_scc1 .LBB17_54
.LBB17_55:
	s_cbranch_execnz .LBB17_58
.LBB17_56:
	s_load_dwordx4 s[4:7], s[34:35], 0x4
	s_load_dwordx2 s[2:3], s[34:35], 0xc4
	s_cmp_lt_u32 s33, 2
	s_waitcnt lgkmcnt(0)
	v_mul_hi_u32 v2, s5, v4
	v_add_u32_e32 v2, v4, v2
	v_lshrrev_b32_e32 v3, s6, v2
	v_mul_lo_u32 v2, v3, s4
	v_sub_u32_e32 v4, v4, v2
	v_mul_lo_u32 v2, v4, s2
	v_mul_lo_u32 v7, v4, s3
	s_cbranch_scc1 .LBB17_58
; %bb.57:
	s_load_dwordx4 s[4:7], s[34:35], 0x10
	s_load_dwordx2 s[2:3], s[34:35], 0xcc
	s_waitcnt lgkmcnt(0)
	v_mul_hi_u32 v4, s5, v3
	v_add_u32_e32 v4, v3, v4
	v_lshrrev_b32_e32 v4, s6, v4
	v_mul_lo_u32 v4, v4, s4
	v_sub_u32_e32 v4, v3, v4
	v_mad_u64_u32 v[2:3], s[4:5], v4, s2, v[2:3]
	v_mad_u64_u32 v[7:8], s[2:3], v4, s3, v[7:8]
.LBB17_58:
	s_and_b64 vcc, exec, s[0:1]
	s_cbranch_vccnz .LBB17_64
; %bb.59:
	s_cmp_lg_u32 s33, 0
	s_waitcnt lgkmcnt(0)
	s_mov_b32 s24, 0
	s_cbranch_scc0 .LBB17_65
; %bb.60:
	s_min_u32 s25, s54, 15
	s_add_i32 s25, s25, 1
	s_cmp_eq_u32 s54, 2
	s_cbranch_scc1 .LBB17_66
; %bb.61:
	s_and_b32 s24, s25, 28
	s_add_u32 s20, s34, 0xc4
	s_addc_u32 s21, s35, 0
	v_mov_b32_e32 v5, 0
	s_mov_b32 s26, 0
	s_mov_b64 s[22:23], s[34:35]
	v_mov_b32_e32 v3, 0
	v_mov_b32_e32 v4, v13
.LBB17_62:                              ; =>This Inner Loop Header: Depth=1
	s_load_dwordx8 s[8:15], s[22:23], 0x4
	s_load_dwordx4 s[16:19], s[22:23], 0x24
	s_load_dwordx8 s[0:7], s[20:21], 0x0
	s_add_u32 s22, s22, 48
	s_addc_u32 s23, s23, 0
	s_waitcnt lgkmcnt(0)
	v_mul_hi_u32 v6, s9, v4
	s_add_i32 s26, s26, 4
	s_add_u32 s20, s20, 32
	s_addc_u32 s21, s21, 0
	v_add_u32_e32 v6, v4, v6
	v_lshrrev_b32_e32 v6, s10, v6
	v_mul_lo_u32 v8, v6, s8
	v_mul_hi_u32 v10, s12, v6
	s_cmp_lg_u32 s24, s26
	v_sub_u32_e32 v4, v4, v8
	v_add_u32_e32 v8, v6, v10
	v_mul_lo_u32 v10, v4, s0
	v_mul_lo_u32 v12, v4, s1
	v_lshrrev_b32_e32 v4, s13, v8
	v_mul_lo_u32 v8, v4, s11
	v_mul_hi_u32 v14, s15, v4
	v_sub_u32_e32 v6, v6, v8
	v_add_u32_e32 v8, v4, v14
	v_lshrrev_b32_e32 v8, s16, v8
	v_mul_hi_u32 v15, s18, v8
	v_mul_lo_u32 v16, v8, s14
	v_mul_lo_u32 v14, v6, s2
	;; [unrolled: 1-line block ×3, first 2 shown]
	v_sub_u32_e32 v16, v4, v16
	v_add_u32_e32 v4, v8, v15
	v_lshrrev_b32_e32 v4, s19, v4
	v_mul_lo_u32 v15, v4, s17
	v_mul_lo_u32 v17, v16, s4
	;; [unrolled: 1-line block ×3, first 2 shown]
	v_add3_u32 v3, v10, v3, v14
	v_sub_u32_e32 v8, v8, v15
	v_mul_lo_u32 v15, v8, s6
	v_mul_lo_u32 v8, v8, s7
	v_add3_u32 v5, v12, v5, v6
	v_add3_u32 v3, v17, v3, v15
	;; [unrolled: 1-line block ×3, first 2 shown]
	s_cbranch_scc1 .LBB17_62
; %bb.63:
	s_and_b32 s4, s25, 3
	s_cmp_eq_u32 s4, 0
	s_cbranch_scc0 .LBB17_67
	s_branch .LBB17_69
.LBB17_64:
                                        ; implicit-def: $vgpr3
                                        ; implicit-def: $vgpr5
	s_branch .LBB17_70
.LBB17_65:
	v_mov_b32_e32 v3, 0
	v_mov_b32_e32 v5, 0
	s_branch .LBB17_69
.LBB17_66:
	v_mov_b32_e32 v3, 0
	v_mov_b32_e32 v5, 0
	;; [unrolled: 1-line block ×3, first 2 shown]
	s_and_b32 s4, s25, 3
	s_cmp_eq_u32 s4, 0
	s_cbranch_scc1 .LBB17_69
.LBB17_67:
	s_lshl_b32 s0, s24, 3
	s_add_u32 s0, s34, s0
	s_addc_u32 s1, s35, 0
	s_add_u32 s0, s0, 0xc4
	s_addc_u32 s1, s1, 0
	s_mul_i32 s2, s24, 12
	s_add_u32 s2, s34, s2
	s_addc_u32 s3, s35, 0
.LBB17_68:                              ; =>This Inner Loop Header: Depth=1
	s_load_dwordx2 s[6:7], s[2:3], 0x4
	s_load_dword s5, s[2:3], 0xc
	s_load_dwordx2 s[8:9], s[0:1], 0x0
	s_add_u32 s2, s2, 12
	s_addc_u32 s3, s3, 0
	s_waitcnt lgkmcnt(0)
	v_mul_hi_u32 v6, s7, v4
	s_add_u32 s0, s0, 8
	s_addc_u32 s1, s1, 0
	s_add_i32 s4, s4, -1
	v_add_u32_e32 v6, v4, v6
	v_lshrrev_b32_e32 v8, s5, v6
	v_mul_lo_u32 v6, v8, s6
	s_cmp_lg_u32 s4, 0
	v_sub_u32_e32 v6, v4, v6
	v_mad_u64_u32 v[3:4], s[6:7], v6, s8, v[3:4]
	v_mad_u64_u32 v[5:6], s[6:7], v6, s9, v[5:6]
	v_mov_b32_e32 v4, v8
	s_cbranch_scc1 .LBB17_68
.LBB17_69:
	s_cbranch_execnz .LBB17_72
.LBB17_70:
	s_load_dwordx4 s[0:3], s[34:35], 0x4
	s_load_dwordx2 s[4:5], s[34:35], 0xc4
	s_cmp_lt_u32 s33, 2
	s_waitcnt lgkmcnt(0)
	v_mul_hi_u32 v3, s1, v13
	v_add_u32_e32 v3, v13, v3
	v_lshrrev_b32_e32 v4, s2, v3
	v_mul_lo_u32 v3, v4, s0
	v_sub_u32_e32 v5, v13, v3
	v_mul_lo_u32 v3, v5, s4
	v_mul_lo_u32 v5, v5, s5
	s_cbranch_scc1 .LBB17_72
; %bb.71:
	s_load_dwordx4 s[0:3], s[34:35], 0x10
	s_load_dwordx2 s[4:5], s[34:35], 0xcc
	s_waitcnt lgkmcnt(0)
	v_mul_hi_u32 v6, s1, v4
	v_add_u32_e32 v6, v4, v6
	v_lshrrev_b32_e32 v6, s2, v6
	v_mul_lo_u32 v6, v6, s0
	v_sub_u32_e32 v6, v4, v6
	v_mad_u64_u32 v[3:4], s[0:1], v6, s4, v[3:4]
	v_mad_u64_u32 v[5:6], s[0:1], v6, s5, v[5:6]
.LBB17_72:
	s_load_dwordx4 s[4:7], s[34:35], 0x148
	s_mov_b32 s0, 0x41000000
                                        ; implicit-def: $vgpr4
	s_waitcnt lgkmcnt(0)
	global_load_dword v6, v11, s[6:7]
	s_waitcnt vmcnt(0)
	v_cmp_le_f32_e64 s[0:1], |v6|, s0
	s_and_saveexec_b64 s[2:3], s[0:1]
	s_xor_b64 s[2:3], exec, s[2:3]
	s_cbranch_execz .LBB17_78
; %bb.73:
	v_fma_f32 v4, |v6|, 0.5, -2.0
	v_mov_b32_e32 v8, 0xa3c2be86
	v_fmac_f32_e32 v8, 0x224cf950, v4
	v_mov_b32_e32 v10, 0xa24cf950
	v_fmac_f32_e32 v10, v4, v8
	v_add_f32_e32 v10, 0x25331f1f, v10
	v_fma_f32 v8, v4, v10, -v8
	v_add_f32_e32 v8, 0xa69f5554, v8
	v_fma_f32 v10, v4, v8, -v10
	;; [unrolled: 2-line block ×25, first 2 shown]
	v_add_f32_e32 v8, 0xbe34a688, v8
	s_mov_b32 s0, 0x3fb8aa3b
	v_fma_f32 v4, v4, v8, -v10
	v_mul_f32_e64 v8, |v6|, s0
	v_rndne_f32_e32 v11, v8
	v_sub_f32_e32 v12, v8, v11
	v_fma_f32 v8, |v6|, s0, -v8
	s_mov_b32 s0, 0x32a5705f
	v_fma_f32 v8, |v6|, s0, v8
	v_add_f32_e32 v8, v12, v8
	v_exp_f32_e32 v12, v8
	v_cvt_i32_f32_e32 v11, v11
	v_add_f32_e32 v4, 0x3e81531c, v4
	v_sub_f32_e32 v4, v4, v10
	v_mul_f32_e32 v4, 0.5, v4
	s_mov_b32 s0, 0xc2ce8ed0
	v_mul_f32_e64 v8, |v6|, v4
	v_ldexp_f32 v4, v12, v11
	v_cmp_nlt_f32_e64 s[0:1], |v6|, s0
	v_cndmask_b32_e64 v4, 0, v4, s[0:1]
	s_mov_b32 s0, 0x42b17218
	v_mov_b32_e32 v10, 0x7f800000
	v_cmp_ngt_f32_e64 s[0:1], |v6|, s0
	v_cmp_ngt_f32_e32 vcc, 0, v6
	v_cndmask_b32_e64 v6, v10, v4, s[0:1]
                                        ; implicit-def: $vgpr4
	s_and_saveexec_b64 s[0:1], vcc
	s_xor_b64 s[0:1], exec, s[0:1]
; %bb.74:
	v_mul_f32_e32 v4, v6, v8
                                        ; implicit-def: $vgpr6
                                        ; implicit-def: $vgpr8
; %bb.75:
	s_andn2_saveexec_b64 s[0:1], s[0:1]
; %bb.76:
	v_mul_f32_e64 v4, v8, -v6
; %bb.77:
	s_or_b64 exec, exec, s[0:1]
                                        ; implicit-def: $vgpr6
.LBB17_78:
	s_andn2_saveexec_b64 s[2:3], s[2:3]
	s_cbranch_execz .LBB17_84
; %bb.79:
	v_and_b32_e32 v4, 0x7fffffff, v6
	s_mov_b32 s8, 0x42000000
	v_div_scale_f32 v8, s[0:1], v4, v4, s8
	v_div_scale_f32 v4, vcc, s8, v4, s8
	s_mov_b32 s9, 0x3fb8aa3b
	s_mov_b32 s10, 0x32a5705f
	v_mov_b32_e32 v10, 0x22a2dc57
	v_mov_b32_e32 v12, 0xa30aab6e
	v_cmp_ngt_f32_e64 s[0:1], 0, v6
	v_rcp_f32_e32 v11, v8
	v_fma_f32 v13, -v8, v11, 1.0
	v_fmac_f32_e32 v11, v13, v11
	v_mul_f32_e32 v13, v4, v11
	v_fma_f32 v14, -v8, v13, v4
	v_fmac_f32_e32 v13, v14, v11
	v_fma_f32 v4, -v8, v13, v4
	v_div_fmas_f32 v4, v4, v11, v13
	v_mul_f32_e64 v8, |v6|, s9
	v_rndne_f32_e32 v11, v8
	v_fma_f32 v13, |v6|, s9, -v8
	v_sub_f32_e32 v8, v8, v11
	v_fma_f32 v13, |v6|, s10, v13
	v_add_f32_e32 v8, v8, v13
	v_cvt_i32_f32_e32 v11, v11
	v_exp_f32_e32 v8, v8
	s_mov_b32 s9, 0xc2ce8ed0
	s_mov_b32 s10, 0x42b17218
	v_cmp_nlt_f32_e64 vcc, |v6|, s9
	v_ldexp_f32 v8, v8, v11
	v_mov_b32_e32 v13, 0x7f800000
	v_cndmask_b32_e32 v8, 0, v8, vcc
	v_cmp_ngt_f32_e64 vcc, |v6|, s10
	v_div_fixup_f32 v4, v4, |v6|, s8
	v_add_f32_e32 v4, -2.0, v4
	v_fmac_f32_e32 v10, 0x230aab6e, v4
	v_fmac_f32_e32 v12, v4, v10
	v_add_f32_e32 v11, 0xa456751e, v12
	v_fma_f32 v10, v4, v11, -v10
	v_add_f32_e32 v10, 0xa4140365, v10
	v_fma_f32 v11, v4, v10, -v11
	;; [unrolled: 2-line block ×22, first 2 shown]
	v_add_f32_e32 v4, 0x3f4750c6, v4
	v_cndmask_b32_e32 v8, v13, v8, vcc
	v_sub_f32_e32 v10, v4, v11
                                        ; implicit-def: $vgpr4
	s_and_saveexec_b64 s[8:9], s[0:1]
	s_xor_b64 s[8:9], exec, s[8:9]
	s_cbranch_execz .LBB17_81
; %bb.80:
	s_mov_b32 s0, 0xf800000
	s_mov_b32 s1, 0x4f800000
	v_mul_f32_e64 v4, |v6|, s1
	v_cmp_lt_f32_e64 vcc, |v6|, s0
	v_cndmask_b32_e64 v4, |v6|, v4, vcc
	v_sqrt_f32_e32 v6, v4
	v_mul_f32_e32 v10, 0.5, v10
	v_mul_f32_e32 v8, v8, v10
	v_add_u32_e32 v10, -1, v6
	v_fma_f32 v11, -v10, v6, v4
	v_cmp_ge_f32_e64 s[0:1], 0, v11
	v_add_u32_e32 v11, 1, v6
	v_cndmask_b32_e64 v10, v6, v10, s[0:1]
	v_fma_f32 v6, -v11, v6, v4
	v_cmp_lt_f32_e64 s[0:1], 0, v6
	v_cndmask_b32_e64 v6, v10, v11, s[0:1]
	v_mul_f32_e32 v10, 0x37800000, v6
	v_cndmask_b32_e32 v6, v6, v10, vcc
	v_mov_b32_e32 v10, 0x260
	v_cmp_class_f32_e32 vcc, v4, v10
	v_cndmask_b32_e32 v4, v6, v4, vcc
	v_div_scale_f32 v6, s[0:1], v4, v4, v8
	v_div_scale_f32 v10, vcc, v8, v4, v8
	v_rcp_f32_e32 v11, v6
	v_fma_f32 v12, -v6, v11, 1.0
	v_fmac_f32_e32 v11, v12, v11
	v_mul_f32_e32 v12, v10, v11
	v_fma_f32 v13, -v6, v12, v10
	v_fmac_f32_e32 v12, v13, v11
	v_fma_f32 v6, -v6, v12, v10
	v_div_fmas_f32 v6, v6, v11, v12
                                        ; implicit-def: $vgpr10
	v_div_fixup_f32 v4, v6, v4, v8
                                        ; implicit-def: $vgpr6
                                        ; implicit-def: $vgpr8
.LBB17_81:
	s_andn2_saveexec_b64 s[8:9], s[8:9]
	s_cbranch_execz .LBB17_83
; %bb.82:
	s_mov_b32 s0, 0xf800000
	s_mov_b32 s1, 0x4f800000
	v_mul_f32_e64 v4, |v6|, s1
	v_cmp_lt_f32_e64 vcc, |v6|, s0
	v_cndmask_b32_e64 v4, |v6|, v4, vcc
	v_sqrt_f32_e32 v6, v4
	v_add_u32_e32 v11, -1, v6
	v_fma_f32 v12, -v11, v6, v4
	v_cmp_ge_f32_e64 s[0:1], 0, v12
	v_add_u32_e32 v12, 1, v6
	v_cndmask_b32_e64 v11, v6, v11, s[0:1]
	v_fma_f32 v6, -v12, v6, v4
	v_cmp_lt_f32_e64 s[0:1], 0, v6
	v_cndmask_b32_e64 v6, v11, v12, s[0:1]
	v_mul_f32_e32 v11, 0x37800000, v6
	v_cndmask_b32_e32 v6, v6, v11, vcc
	v_mov_b32_e32 v11, 0x260
	v_cmp_class_f32_e32 vcc, v4, v11
	v_cndmask_b32_e32 v4, v6, v4, vcc
	v_mul_f32_e32 v6, -0.5, v10
	v_mul_f32_e32 v6, v8, v6
	v_div_scale_f32 v8, s[0:1], v4, v4, v6
	v_div_scale_f32 v10, vcc, v6, v4, v6
	v_rcp_f32_e32 v11, v8
	v_fma_f32 v12, -v8, v11, 1.0
	v_fmac_f32_e32 v11, v12, v11
	v_mul_f32_e32 v12, v10, v11
	v_fma_f32 v13, -v8, v12, v10
	v_fmac_f32_e32 v12, v13, v11
	v_fma_f32 v8, -v8, v12, v10
	v_div_fmas_f32 v8, v8, v11, v12
	v_div_fixup_f32 v4, v8, v4, v6
.LBB17_83:
	s_or_b64 exec, exec, s[8:9]
.LBB17_84:
	s_or_b64 exec, exec, s[2:3]
	global_load_dword v8, v9, s[6:7]
	s_mov_b32 s0, 0x41000000
                                        ; implicit-def: $vgpr6
	s_waitcnt vmcnt(0)
	v_cmp_le_f32_e64 s[0:1], |v8|, s0
	s_and_saveexec_b64 s[2:3], s[0:1]
	s_xor_b64 s[2:3], exec, s[2:3]
	s_cbranch_execz .LBB17_90
; %bb.85:
	v_fma_f32 v6, |v8|, 0.5, -2.0
	v_mov_b32_e32 v9, 0xa3c2be86
	v_fmac_f32_e32 v9, 0x224cf950, v6
	v_mov_b32_e32 v10, 0xa24cf950
	v_fmac_f32_e32 v10, v6, v9
	v_add_f32_e32 v10, 0x25331f1f, v10
	v_fma_f32 v9, v6, v10, -v9
	v_add_f32_e32 v9, 0xa69f5554, v9
	v_fma_f32 v10, v6, v9, -v10
	;; [unrolled: 2-line block ×25, first 2 shown]
	v_add_f32_e32 v9, 0xbe34a688, v9
	s_mov_b32 s0, 0x3fb8aa3b
	v_fma_f32 v6, v6, v9, -v10
	v_mul_f32_e64 v9, |v8|, s0
	v_rndne_f32_e32 v11, v9
	v_sub_f32_e32 v12, v9, v11
	v_fma_f32 v9, |v8|, s0, -v9
	s_mov_b32 s0, 0x32a5705f
	v_fma_f32 v9, |v8|, s0, v9
	v_add_f32_e32 v9, v12, v9
	v_exp_f32_e32 v12, v9
	v_cvt_i32_f32_e32 v11, v11
	v_add_f32_e32 v6, 0x3e81531c, v6
	v_sub_f32_e32 v6, v6, v10
	v_mul_f32_e32 v6, 0.5, v6
	s_mov_b32 s0, 0xc2ce8ed0
	v_mul_f32_e64 v9, |v8|, v6
	v_ldexp_f32 v6, v12, v11
	v_cmp_nlt_f32_e64 s[0:1], |v8|, s0
	v_cndmask_b32_e64 v6, 0, v6, s[0:1]
	s_mov_b32 s0, 0x42b17218
	v_mov_b32_e32 v10, 0x7f800000
	v_cmp_ngt_f32_e64 s[0:1], |v8|, s0
	v_cmp_ngt_f32_e32 vcc, 0, v8
	v_cndmask_b32_e64 v8, v10, v6, s[0:1]
                                        ; implicit-def: $vgpr6
	s_and_saveexec_b64 s[0:1], vcc
	s_xor_b64 s[0:1], exec, s[0:1]
; %bb.86:
	v_mul_f32_e32 v6, v8, v9
                                        ; implicit-def: $vgpr8
                                        ; implicit-def: $vgpr9
; %bb.87:
	s_andn2_saveexec_b64 s[0:1], s[0:1]
; %bb.88:
	v_mul_f32_e64 v6, v9, -v8
; %bb.89:
	s_or_b64 exec, exec, s[0:1]
                                        ; implicit-def: $vgpr8
.LBB17_90:
	s_andn2_saveexec_b64 s[2:3], s[2:3]
	s_cbranch_execz .LBB17_96
; %bb.91:
	v_and_b32_e32 v6, 0x7fffffff, v8
	s_mov_b32 s8, 0x42000000
	v_div_scale_f32 v9, s[0:1], v6, v6, s8
	v_div_scale_f32 v6, vcc, s8, v6, s8
	s_mov_b32 s9, 0x3fb8aa3b
	s_mov_b32 s10, 0x32a5705f
	v_mov_b32_e32 v10, 0x22a2dc57
	v_mov_b32_e32 v12, 0xa30aab6e
	v_cmp_ngt_f32_e64 s[0:1], 0, v8
	v_rcp_f32_e32 v11, v9
	v_fma_f32 v13, -v9, v11, 1.0
	v_fmac_f32_e32 v11, v13, v11
	v_mul_f32_e32 v13, v6, v11
	v_fma_f32 v14, -v9, v13, v6
	v_fmac_f32_e32 v13, v14, v11
	v_fma_f32 v6, -v9, v13, v6
	v_div_fmas_f32 v6, v6, v11, v13
	v_mul_f32_e64 v9, |v8|, s9
	v_rndne_f32_e32 v11, v9
	v_fma_f32 v13, |v8|, s9, -v9
	v_sub_f32_e32 v9, v9, v11
	v_fma_f32 v13, |v8|, s10, v13
	v_add_f32_e32 v9, v9, v13
	v_cvt_i32_f32_e32 v11, v11
	v_exp_f32_e32 v9, v9
	s_mov_b32 s9, 0xc2ce8ed0
	s_mov_b32 s10, 0x42b17218
	v_cmp_nlt_f32_e64 vcc, |v8|, s9
	v_ldexp_f32 v9, v9, v11
	v_mov_b32_e32 v13, 0x7f800000
	v_cndmask_b32_e32 v9, 0, v9, vcc
	v_cmp_ngt_f32_e64 vcc, |v8|, s10
	v_div_fixup_f32 v6, v6, |v8|, s8
	v_add_f32_e32 v6, -2.0, v6
	v_fmac_f32_e32 v10, 0x230aab6e, v6
	v_fmac_f32_e32 v12, v6, v10
	v_add_f32_e32 v11, 0xa456751e, v12
	v_fma_f32 v10, v6, v11, -v10
	v_add_f32_e32 v10, 0xa4140365, v10
	v_fma_f32 v11, v6, v10, -v11
	;; [unrolled: 2-line block ×22, first 2 shown]
	v_add_f32_e32 v6, 0x3f4750c6, v6
	v_cndmask_b32_e32 v9, v13, v9, vcc
	v_sub_f32_e32 v10, v6, v11
                                        ; implicit-def: $vgpr6
	s_and_saveexec_b64 s[8:9], s[0:1]
	s_xor_b64 s[8:9], exec, s[8:9]
	s_cbranch_execz .LBB17_93
; %bb.92:
	s_mov_b32 s0, 0xf800000
	s_mov_b32 s1, 0x4f800000
	v_mul_f32_e64 v6, |v8|, s1
	v_cmp_lt_f32_e64 vcc, |v8|, s0
	v_cndmask_b32_e64 v6, |v8|, v6, vcc
	v_sqrt_f32_e32 v8, v6
	v_mul_f32_e32 v10, 0.5, v10
	v_mul_f32_e32 v9, v9, v10
	v_add_u32_e32 v10, -1, v8
	v_fma_f32 v11, -v10, v8, v6
	v_cmp_ge_f32_e64 s[0:1], 0, v11
	v_add_u32_e32 v11, 1, v8
	v_cndmask_b32_e64 v10, v8, v10, s[0:1]
	v_fma_f32 v8, -v11, v8, v6
	v_cmp_lt_f32_e64 s[0:1], 0, v8
	v_cndmask_b32_e64 v8, v10, v11, s[0:1]
	v_mul_f32_e32 v10, 0x37800000, v8
	v_cndmask_b32_e32 v8, v8, v10, vcc
	v_mov_b32_e32 v10, 0x260
	v_cmp_class_f32_e32 vcc, v6, v10
	v_cndmask_b32_e32 v6, v8, v6, vcc
	v_div_scale_f32 v8, s[0:1], v6, v6, v9
	v_div_scale_f32 v10, vcc, v9, v6, v9
	v_rcp_f32_e32 v11, v8
	v_fma_f32 v12, -v8, v11, 1.0
	v_fmac_f32_e32 v11, v12, v11
	v_mul_f32_e32 v12, v10, v11
	v_fma_f32 v13, -v8, v12, v10
	v_fmac_f32_e32 v12, v13, v11
	v_fma_f32 v8, -v8, v12, v10
	v_div_fmas_f32 v8, v8, v11, v12
                                        ; implicit-def: $vgpr10
	v_div_fixup_f32 v6, v8, v6, v9
                                        ; implicit-def: $vgpr8
                                        ; implicit-def: $vgpr9
.LBB17_93:
	s_andn2_saveexec_b64 s[8:9], s[8:9]
	s_cbranch_execz .LBB17_95
; %bb.94:
	s_mov_b32 s0, 0xf800000
	s_mov_b32 s1, 0x4f800000
	v_mul_f32_e64 v6, |v8|, s1
	v_cmp_lt_f32_e64 vcc, |v8|, s0
	v_cndmask_b32_e64 v6, |v8|, v6, vcc
	v_sqrt_f32_e32 v8, v6
	v_add_u32_e32 v11, -1, v8
	v_fma_f32 v12, -v11, v8, v6
	v_cmp_ge_f32_e64 s[0:1], 0, v12
	v_add_u32_e32 v12, 1, v8
	v_cndmask_b32_e64 v11, v8, v11, s[0:1]
	v_fma_f32 v8, -v12, v8, v6
	v_cmp_lt_f32_e64 s[0:1], 0, v8
	v_cndmask_b32_e64 v8, v11, v12, s[0:1]
	v_mul_f32_e32 v11, 0x37800000, v8
	v_cndmask_b32_e32 v8, v8, v11, vcc
	v_mov_b32_e32 v11, 0x260
	v_cmp_class_f32_e32 vcc, v6, v11
	v_cndmask_b32_e32 v6, v8, v6, vcc
	v_mul_f32_e32 v8, -0.5, v10
	v_mul_f32_e32 v8, v9, v8
	v_div_scale_f32 v9, s[0:1], v6, v6, v8
	v_div_scale_f32 v10, vcc, v8, v6, v8
	v_rcp_f32_e32 v11, v9
	v_fma_f32 v12, -v9, v11, 1.0
	v_fmac_f32_e32 v11, v12, v11
	v_mul_f32_e32 v12, v10, v11
	v_fma_f32 v13, -v9, v12, v10
	v_fmac_f32_e32 v12, v13, v11
	v_fma_f32 v9, -v9, v12, v10
	v_div_fmas_f32 v9, v9, v11, v12
	v_div_fixup_f32 v6, v9, v6, v8
.LBB17_95:
	s_or_b64 exec, exec, s[8:9]
.LBB17_96:
	s_or_b64 exec, exec, s[2:3]
	global_load_dword v8, v7, s[6:7]
	s_mov_b32 s0, 0x41000000
                                        ; implicit-def: $vgpr7
	s_waitcnt vmcnt(0)
	v_cmp_le_f32_e64 s[0:1], |v8|, s0
	s_and_saveexec_b64 s[2:3], s[0:1]
	s_xor_b64 s[2:3], exec, s[2:3]
	s_cbranch_execz .LBB17_102
; %bb.97:
	v_fma_f32 v7, |v8|, 0.5, -2.0
	v_mov_b32_e32 v9, 0xa3c2be86
	v_fmac_f32_e32 v9, 0x224cf950, v7
	v_mov_b32_e32 v10, 0xa24cf950
	v_fmac_f32_e32 v10, v7, v9
	v_add_f32_e32 v10, 0x25331f1f, v10
	v_fma_f32 v9, v7, v10, -v9
	v_add_f32_e32 v9, 0xa69f5554, v9
	v_fma_f32 v10, v7, v9, -v10
	;; [unrolled: 2-line block ×25, first 2 shown]
	v_add_f32_e32 v9, 0xbe34a688, v9
	s_mov_b32 s0, 0x3fb8aa3b
	v_fma_f32 v7, v7, v9, -v10
	v_mul_f32_e64 v9, |v8|, s0
	v_rndne_f32_e32 v11, v9
	v_sub_f32_e32 v12, v9, v11
	v_fma_f32 v9, |v8|, s0, -v9
	s_mov_b32 s0, 0x32a5705f
	v_fma_f32 v9, |v8|, s0, v9
	v_add_f32_e32 v9, v12, v9
	v_exp_f32_e32 v12, v9
	v_cvt_i32_f32_e32 v11, v11
	v_add_f32_e32 v7, 0x3e81531c, v7
	v_sub_f32_e32 v7, v7, v10
	v_mul_f32_e32 v7, 0.5, v7
	s_mov_b32 s0, 0xc2ce8ed0
	v_mul_f32_e64 v9, |v8|, v7
	v_ldexp_f32 v7, v12, v11
	v_cmp_nlt_f32_e64 s[0:1], |v8|, s0
	v_cndmask_b32_e64 v7, 0, v7, s[0:1]
	s_mov_b32 s0, 0x42b17218
	v_mov_b32_e32 v10, 0x7f800000
	v_cmp_ngt_f32_e64 s[0:1], |v8|, s0
	v_cmp_ngt_f32_e32 vcc, 0, v8
	v_cndmask_b32_e64 v8, v10, v7, s[0:1]
                                        ; implicit-def: $vgpr7
	s_and_saveexec_b64 s[0:1], vcc
	s_xor_b64 s[0:1], exec, s[0:1]
; %bb.98:
	v_mul_f32_e32 v7, v8, v9
                                        ; implicit-def: $vgpr8
                                        ; implicit-def: $vgpr9
; %bb.99:
	s_andn2_saveexec_b64 s[0:1], s[0:1]
; %bb.100:
	v_mul_f32_e64 v7, v9, -v8
; %bb.101:
	s_or_b64 exec, exec, s[0:1]
                                        ; implicit-def: $vgpr8
.LBB17_102:
	s_andn2_saveexec_b64 s[2:3], s[2:3]
	s_cbranch_execz .LBB17_108
; %bb.103:
	v_and_b32_e32 v7, 0x7fffffff, v8
	s_mov_b32 s8, 0x42000000
	v_div_scale_f32 v9, s[0:1], v7, v7, s8
	v_div_scale_f32 v7, vcc, s8, v7, s8
	s_mov_b32 s9, 0x3fb8aa3b
	s_mov_b32 s10, 0x32a5705f
	v_mov_b32_e32 v10, 0x22a2dc57
	v_mov_b32_e32 v12, 0xa30aab6e
	v_cmp_ngt_f32_e64 s[0:1], 0, v8
	v_rcp_f32_e32 v11, v9
	v_fma_f32 v13, -v9, v11, 1.0
	v_fmac_f32_e32 v11, v13, v11
	v_mul_f32_e32 v13, v7, v11
	v_fma_f32 v14, -v9, v13, v7
	v_fmac_f32_e32 v13, v14, v11
	v_fma_f32 v7, -v9, v13, v7
	v_div_fmas_f32 v7, v7, v11, v13
	v_mul_f32_e64 v9, |v8|, s9
	v_rndne_f32_e32 v11, v9
	v_fma_f32 v13, |v8|, s9, -v9
	v_sub_f32_e32 v9, v9, v11
	v_fma_f32 v13, |v8|, s10, v13
	v_add_f32_e32 v9, v9, v13
	v_cvt_i32_f32_e32 v11, v11
	v_exp_f32_e32 v9, v9
	s_mov_b32 s9, 0xc2ce8ed0
	s_mov_b32 s10, 0x42b17218
	v_cmp_nlt_f32_e64 vcc, |v8|, s9
	v_ldexp_f32 v9, v9, v11
	v_mov_b32_e32 v13, 0x7f800000
	v_cndmask_b32_e32 v9, 0, v9, vcc
	v_cmp_ngt_f32_e64 vcc, |v8|, s10
	v_div_fixup_f32 v7, v7, |v8|, s8
	v_add_f32_e32 v7, -2.0, v7
	v_fmac_f32_e32 v10, 0x230aab6e, v7
	v_fmac_f32_e32 v12, v7, v10
	v_add_f32_e32 v11, 0xa456751e, v12
	v_fma_f32 v10, v7, v11, -v10
	v_add_f32_e32 v10, 0xa4140365, v10
	v_fma_f32 v11, v7, v10, -v11
	;; [unrolled: 2-line block ×22, first 2 shown]
	v_add_f32_e32 v7, 0x3f4750c6, v7
	v_cndmask_b32_e32 v9, v13, v9, vcc
	v_sub_f32_e32 v10, v7, v11
                                        ; implicit-def: $vgpr7
	s_and_saveexec_b64 s[8:9], s[0:1]
	s_xor_b64 s[8:9], exec, s[8:9]
	s_cbranch_execz .LBB17_105
; %bb.104:
	s_mov_b32 s0, 0xf800000
	s_mov_b32 s1, 0x4f800000
	v_mul_f32_e64 v7, |v8|, s1
	v_cmp_lt_f32_e64 vcc, |v8|, s0
	v_cndmask_b32_e64 v7, |v8|, v7, vcc
	v_sqrt_f32_e32 v8, v7
	v_mul_f32_e32 v10, 0.5, v10
	v_mul_f32_e32 v9, v9, v10
	v_add_u32_e32 v10, -1, v8
	v_fma_f32 v11, -v10, v8, v7
	v_cmp_ge_f32_e64 s[0:1], 0, v11
	v_add_u32_e32 v11, 1, v8
	v_cndmask_b32_e64 v10, v8, v10, s[0:1]
	v_fma_f32 v8, -v11, v8, v7
	v_cmp_lt_f32_e64 s[0:1], 0, v8
	v_cndmask_b32_e64 v8, v10, v11, s[0:1]
	v_mul_f32_e32 v10, 0x37800000, v8
	v_cndmask_b32_e32 v8, v8, v10, vcc
	v_mov_b32_e32 v10, 0x260
	v_cmp_class_f32_e32 vcc, v7, v10
	v_cndmask_b32_e32 v7, v8, v7, vcc
	v_div_scale_f32 v8, s[0:1], v7, v7, v9
	v_div_scale_f32 v10, vcc, v9, v7, v9
	v_rcp_f32_e32 v11, v8
	v_fma_f32 v12, -v8, v11, 1.0
	v_fmac_f32_e32 v11, v12, v11
	v_mul_f32_e32 v12, v10, v11
	v_fma_f32 v13, -v8, v12, v10
	v_fmac_f32_e32 v12, v13, v11
	v_fma_f32 v8, -v8, v12, v10
	v_div_fmas_f32 v8, v8, v11, v12
                                        ; implicit-def: $vgpr10
	v_div_fixup_f32 v7, v8, v7, v9
                                        ; implicit-def: $vgpr8
                                        ; implicit-def: $vgpr9
.LBB17_105:
	s_andn2_saveexec_b64 s[8:9], s[8:9]
	s_cbranch_execz .LBB17_107
; %bb.106:
	s_mov_b32 s0, 0xf800000
	s_mov_b32 s1, 0x4f800000
	v_mul_f32_e64 v7, |v8|, s1
	v_cmp_lt_f32_e64 vcc, |v8|, s0
	v_cndmask_b32_e64 v7, |v8|, v7, vcc
	v_sqrt_f32_e32 v8, v7
	v_add_u32_e32 v11, -1, v8
	v_fma_f32 v12, -v11, v8, v7
	v_cmp_ge_f32_e64 s[0:1], 0, v12
	v_add_u32_e32 v12, 1, v8
	v_cndmask_b32_e64 v11, v8, v11, s[0:1]
	v_fma_f32 v8, -v12, v8, v7
	v_cmp_lt_f32_e64 s[0:1], 0, v8
	v_cndmask_b32_e64 v8, v11, v12, s[0:1]
	v_mul_f32_e32 v11, 0x37800000, v8
	v_cndmask_b32_e32 v8, v8, v11, vcc
	v_mov_b32_e32 v11, 0x260
	v_cmp_class_f32_e32 vcc, v7, v11
	v_cndmask_b32_e32 v7, v8, v7, vcc
	v_mul_f32_e32 v8, -0.5, v10
	v_mul_f32_e32 v8, v9, v8
	v_div_scale_f32 v9, s[0:1], v7, v7, v8
	v_div_scale_f32 v10, vcc, v8, v7, v8
	v_rcp_f32_e32 v11, v9
	v_fma_f32 v12, -v9, v11, 1.0
	v_fmac_f32_e32 v11, v12, v11
	v_mul_f32_e32 v12, v10, v11
	v_fma_f32 v13, -v9, v12, v10
	v_fmac_f32_e32 v12, v13, v11
	v_fma_f32 v9, -v9, v12, v10
	v_div_fmas_f32 v9, v9, v11, v12
	v_div_fixup_f32 v7, v9, v7, v8
.LBB17_107:
	s_or_b64 exec, exec, s[8:9]
.LBB17_108:
	s_or_b64 exec, exec, s[2:3]
	global_load_dword v5, v5, s[6:7]
	s_mov_b32 s0, 0x41000000
                                        ; implicit-def: $vgpr8
	s_waitcnt vmcnt(0)
	v_cmp_le_f32_e64 s[0:1], |v5|, s0
	s_and_saveexec_b64 s[2:3], s[0:1]
	s_xor_b64 s[2:3], exec, s[2:3]
	s_cbranch_execz .LBB17_114
; %bb.109:
	v_fma_f32 v8, |v5|, 0.5, -2.0
	v_mov_b32_e32 v9, 0xa3c2be86
	v_fmac_f32_e32 v9, 0x224cf950, v8
	v_mov_b32_e32 v10, 0xa24cf950
	v_fmac_f32_e32 v10, v8, v9
	v_add_f32_e32 v10, 0x25331f1f, v10
	v_fma_f32 v9, v8, v10, -v9
	v_add_f32_e32 v9, 0xa69f5554, v9
	v_fma_f32 v10, v8, v9, -v10
	v_add_f32_e32 v10, 0x2808ebf8, v10
	v_fma_f32 v9, v8, v10, -v9
	v_add_f32_e32 v9, 0xa9631471, v9
	v_fma_f32 v10, v8, v9, -v10
	v_add_f32_e32 v10, 0x2ab57bc2, v10
	v_fma_f32 v9, v8, v10, -v9
	v_add_f32_e32 v9, 0xac0b9c1b, v9
	v_fma_f32 v10, v8, v9, -v10
	v_add_f32_e32 v10, 0x2d4e7716, v10
	v_fma_f32 v9, v8, v10, -v9
	v_add_f32_e32 v9, 0xae92881d, v9
	v_fma_f32 v10, v8, v9, -v10
	v_add_f32_e32 v10, 0x2fc751a6, v10
	v_fma_f32 v9, v8, v10, -v9
	v_add_f32_e32 v9, 0xb101b0d9, v9
	v_fma_f32 v10, v8, v9, -v10
	v_add_f32_e32 v10, 0x32212c70, v10
	v_fma_f32 v9, v8, v10, -v9
	v_add_f32_e32 v9, 0xb33ee9f1, v9
	v_fma_f32 v10, v8, v9, -v10
	v_add_f32_e32 v10, 0x34571a26, v10
	v_fma_f32 v9, v8, v10, -v9
	v_add_f32_e32 v9, 0xb56603cc, v9
	v_fma_f32 v10, v8, v9, -v10
	v_add_f32_e32 v10, 0x3668e277, v10
	v_fma_f32 v9, v8, v10, -v9
	v_add_f32_e32 v9, 0xb75eafce, v9
	v_fma_f32 v10, v8, v9, -v10
	v_add_f32_e32 v10, 0x38488daa, v10
	v_fma_f32 v9, v8, v10, -v9
	v_add_f32_e32 v9, 0xb9299e57, v9
	v_fma_f32 v10, v8, v9, -v10
	v_add_f32_e32 v10, 0x3a064aee, v10
	v_fma_f32 v9, v8, v10, -v9
	v_add_f32_e32 v9, 0xbac66310, v9
	v_fma_f32 v10, v8, v9, -v10
	v_add_f32_e32 v10, 0x3b88329a, v10
	v_fma_f32 v9, v8, v10, -v9
	v_add_f32_e32 v9, 0xbc2d14fc, v9
	v_fma_f32 v10, v8, v9, -v10
	v_add_f32_e32 v10, 0x3cca8f1f, v10
	v_fma_f32 v9, v8, v10, -v9
	v_add_f32_e32 v9, 0xbd58dde3, v9
	v_fma_f32 v10, v8, v9, -v10
	v_add_f32_e32 v10, 0x3dd236d7, v10
	v_fma_f32 v9, v8, v10, -v9
	v_add_f32_e32 v9, 0xbe34a688, v9
	s_mov_b32 s0, 0x3fb8aa3b
	v_fma_f32 v8, v8, v9, -v10
	v_mul_f32_e64 v9, |v5|, s0
	v_rndne_f32_e32 v11, v9
	v_sub_f32_e32 v12, v9, v11
	v_fma_f32 v9, |v5|, s0, -v9
	s_mov_b32 s0, 0x32a5705f
	v_fma_f32 v9, |v5|, s0, v9
	v_add_f32_e32 v9, v12, v9
	v_exp_f32_e32 v12, v9
	v_cvt_i32_f32_e32 v11, v11
	v_add_f32_e32 v8, 0x3e81531c, v8
	v_sub_f32_e32 v8, v8, v10
	v_mul_f32_e32 v8, 0.5, v8
	s_mov_b32 s0, 0xc2ce8ed0
	v_mul_f32_e64 v9, |v5|, v8
	v_ldexp_f32 v8, v12, v11
	v_cmp_nlt_f32_e64 s[0:1], |v5|, s0
	v_cndmask_b32_e64 v8, 0, v8, s[0:1]
	s_mov_b32 s0, 0x42b17218
	v_mov_b32_e32 v10, 0x7f800000
	v_cmp_ngt_f32_e64 s[0:1], |v5|, s0
	v_cmp_ngt_f32_e32 vcc, 0, v5
	v_cndmask_b32_e64 v5, v10, v8, s[0:1]
                                        ; implicit-def: $vgpr8
	s_and_saveexec_b64 s[0:1], vcc
	s_xor_b64 s[0:1], exec, s[0:1]
; %bb.110:
	v_mul_f32_e32 v8, v5, v9
                                        ; implicit-def: $vgpr5
                                        ; implicit-def: $vgpr9
; %bb.111:
	s_andn2_saveexec_b64 s[0:1], s[0:1]
; %bb.112:
	v_mul_f32_e64 v8, v9, -v5
; %bb.113:
	s_or_b64 exec, exec, s[0:1]
                                        ; implicit-def: $vgpr5
.LBB17_114:
	s_andn2_saveexec_b64 s[2:3], s[2:3]
	s_cbranch_execz .LBB17_120
; %bb.115:
	v_and_b32_e32 v8, 0x7fffffff, v5
	s_mov_b32 s6, 0x42000000
	v_div_scale_f32 v9, s[0:1], v8, v8, s6
	v_div_scale_f32 v8, vcc, s6, v8, s6
	s_mov_b32 s7, 0x3fb8aa3b
	s_mov_b32 s8, 0x32a5705f
	v_mov_b32_e32 v10, 0x22a2dc57
	v_mov_b32_e32 v12, 0xa30aab6e
	v_cmp_ngt_f32_e64 s[0:1], 0, v5
	v_rcp_f32_e32 v11, v9
	v_fma_f32 v13, -v9, v11, 1.0
	v_fmac_f32_e32 v11, v13, v11
	v_mul_f32_e32 v13, v8, v11
	v_fma_f32 v14, -v9, v13, v8
	v_fmac_f32_e32 v13, v14, v11
	v_fma_f32 v8, -v9, v13, v8
	v_div_fmas_f32 v8, v8, v11, v13
	v_mul_f32_e64 v9, |v5|, s7
	v_rndne_f32_e32 v11, v9
	v_fma_f32 v13, |v5|, s7, -v9
	v_sub_f32_e32 v9, v9, v11
	v_fma_f32 v13, |v5|, s8, v13
	v_add_f32_e32 v9, v9, v13
	v_cvt_i32_f32_e32 v11, v11
	v_exp_f32_e32 v9, v9
	s_mov_b32 s7, 0xc2ce8ed0
	s_mov_b32 s8, 0x42b17218
	v_cmp_nlt_f32_e64 vcc, |v5|, s7
	v_ldexp_f32 v9, v9, v11
	v_mov_b32_e32 v13, 0x7f800000
	v_cndmask_b32_e32 v9, 0, v9, vcc
	v_cmp_ngt_f32_e64 vcc, |v5|, s8
	v_div_fixup_f32 v8, v8, |v5|, s6
	v_add_f32_e32 v8, -2.0, v8
	v_fmac_f32_e32 v10, 0x230aab6e, v8
	v_fmac_f32_e32 v12, v8, v10
	v_add_f32_e32 v11, 0xa456751e, v12
	v_fma_f32 v10, v8, v11, -v10
	v_add_f32_e32 v10, 0xa4140365, v10
	v_fma_f32 v11, v8, v10, -v11
	;; [unrolled: 2-line block ×22, first 2 shown]
	v_add_f32_e32 v8, 0x3f4750c6, v8
	v_cndmask_b32_e32 v9, v13, v9, vcc
	v_sub_f32_e32 v10, v8, v11
                                        ; implicit-def: $vgpr8
	s_and_saveexec_b64 s[6:7], s[0:1]
	s_xor_b64 s[6:7], exec, s[6:7]
	s_cbranch_execz .LBB17_117
; %bb.116:
	s_mov_b32 s0, 0xf800000
	s_mov_b32 s1, 0x4f800000
	v_mul_f32_e64 v8, |v5|, s1
	v_cmp_lt_f32_e64 vcc, |v5|, s0
	v_cndmask_b32_e64 v5, |v5|, v8, vcc
	v_sqrt_f32_e32 v8, v5
	v_mul_f32_e32 v10, 0.5, v10
	v_mul_f32_e32 v9, v9, v10
	v_add_u32_e32 v10, -1, v8
	v_fma_f32 v11, -v10, v8, v5
	v_cmp_ge_f32_e64 s[0:1], 0, v11
	v_add_u32_e32 v11, 1, v8
	v_cndmask_b32_e64 v10, v8, v10, s[0:1]
	v_fma_f32 v8, -v11, v8, v5
	v_cmp_lt_f32_e64 s[0:1], 0, v8
	v_cndmask_b32_e64 v8, v10, v11, s[0:1]
	v_mul_f32_e32 v10, 0x37800000, v8
	v_cndmask_b32_e32 v8, v8, v10, vcc
	v_mov_b32_e32 v10, 0x260
	v_cmp_class_f32_e32 vcc, v5, v10
	v_cndmask_b32_e32 v5, v8, v5, vcc
	v_div_scale_f32 v8, s[0:1], v5, v5, v9
	v_div_scale_f32 v10, vcc, v9, v5, v9
	v_rcp_f32_e32 v11, v8
	v_fma_f32 v12, -v8, v11, 1.0
	v_fmac_f32_e32 v11, v12, v11
	v_mul_f32_e32 v12, v10, v11
	v_fma_f32 v13, -v8, v12, v10
	v_fmac_f32_e32 v12, v13, v11
	v_fma_f32 v8, -v8, v12, v10
	v_div_fmas_f32 v8, v8, v11, v12
                                        ; implicit-def: $vgpr10
	v_div_fixup_f32 v8, v8, v5, v9
                                        ; implicit-def: $vgpr5
                                        ; implicit-def: $vgpr9
.LBB17_117:
	s_andn2_saveexec_b64 s[6:7], s[6:7]
	s_cbranch_execz .LBB17_119
; %bb.118:
	s_mov_b32 s0, 0xf800000
	s_mov_b32 s1, 0x4f800000
	v_mul_f32_e64 v8, |v5|, s1
	v_cmp_lt_f32_e64 vcc, |v5|, s0
	v_cndmask_b32_e64 v5, |v5|, v8, vcc
	v_sqrt_f32_e32 v8, v5
	v_add_u32_e32 v11, -1, v8
	v_fma_f32 v12, -v11, v8, v5
	v_cmp_ge_f32_e64 s[0:1], 0, v12
	v_add_u32_e32 v12, 1, v8
	v_cndmask_b32_e64 v11, v8, v11, s[0:1]
	v_fma_f32 v8, -v12, v8, v5
	v_cmp_lt_f32_e64 s[0:1], 0, v8
	v_cndmask_b32_e64 v8, v11, v12, s[0:1]
	v_mul_f32_e32 v11, 0x37800000, v8
	v_cndmask_b32_e32 v8, v8, v11, vcc
	v_mov_b32_e32 v11, 0x260
	v_cmp_class_f32_e32 vcc, v5, v11
	v_cndmask_b32_e32 v5, v8, v5, vcc
	v_mul_f32_e32 v8, -0.5, v10
	v_mul_f32_e32 v8, v9, v8
	v_div_scale_f32 v9, s[0:1], v5, v5, v8
	v_div_scale_f32 v10, vcc, v8, v5, v8
	v_rcp_f32_e32 v11, v9
	v_fma_f32 v12, -v9, v11, 1.0
	v_fmac_f32_e32 v11, v12, v11
	v_mul_f32_e32 v12, v10, v11
	v_fma_f32 v13, -v9, v12, v10
	v_fmac_f32_e32 v12, v13, v11
	v_fma_f32 v9, -v9, v12, v10
	v_div_fmas_f32 v9, v9, v11, v12
	v_div_fixup_f32 v8, v9, v5, v8
.LBB17_119:
	s_or_b64 exec, exec, s[6:7]
.LBB17_120:
	s_or_b64 exec, exec, s[2:3]
	global_store_dword v0, v4, s[4:5]
	global_store_dword v1, v6, s[4:5]
	;; [unrolled: 1-line block ×4, first 2 shown]
	s_endpgm
.LBB17_121:
	v_mov_b32_e32 v0, 0
	v_mov_b32_e32 v2, 0
	s_branch .LBB17_127
.LBB17_122:
	v_mov_b32_e32 v0, 0
	v_mov_b32_e32 v2, 0
	s_branch .LBB17_155
.LBB17_123:
	s_mov_b32 s57, 0
	v_mov_b32_e32 v0, 0
	v_mov_b32_e32 v2, 0
	;; [unrolled: 1-line block ×3, first 2 shown]
.LBB17_124:
	s_and_b32 s4, s58, 3
	s_cmp_eq_u32 s4, 0
	s_cbranch_scc1 .LBB17_127
; %bb.125:
	s_lshl_b32 s0, s57, 3
	s_add_u32 s0, s34, s0
	s_addc_u32 s1, s35, 0
	s_add_u32 s0, s0, 0xc4
	s_addc_u32 s1, s1, 0
	s_mul_i32 s2, s57, 12
	s_add_u32 s2, s34, s2
	s_addc_u32 s3, s35, 0
.LBB17_126:                             ; =>This Inner Loop Header: Depth=1
	s_load_dwordx2 s[6:7], s[2:3], 0x4
	s_load_dword s5, s[2:3], 0xc
	s_load_dwordx2 s[8:9], s[0:1], 0x0
	s_add_u32 s2, s2, 12
	s_addc_u32 s3, s3, 0
	s_waitcnt lgkmcnt(0)
	v_mul_hi_u32 v3, s7, v1
	s_add_u32 s0, s0, 8
	s_addc_u32 s1, s1, 0
	s_add_i32 s4, s4, -1
	v_add_u32_e32 v3, v1, v3
	v_lshrrev_b32_e32 v5, s5, v3
	v_mul_lo_u32 v3, v5, s6
	s_cmp_lg_u32 s4, 0
	v_sub_u32_e32 v3, v1, v3
	v_mad_u64_u32 v[0:1], s[6:7], v3, s8, v[0:1]
	v_mad_u64_u32 v[2:3], s[6:7], v3, s9, v[2:3]
	v_mov_b32_e32 v1, v5
	s_cbranch_scc1 .LBB17_126
.LBB17_127:
	s_cbranch_execnz .LBB17_130
.LBB17_128:
	s_waitcnt lgkmcnt(0)
	v_mul_hi_u32 v0, s25, v4
	s_andn2_b64 vcc, exec, s[42:43]
	v_add_u32_e32 v0, v4, v0
	v_lshrrev_b32_e32 v1, s26, v0
	v_mul_lo_u32 v0, v1, s24
	v_sub_u32_e32 v2, v4, v0
	v_mul_lo_u32 v0, v2, s20
	v_mul_lo_u32 v2, v2, s21
	s_cbranch_vccnz .LBB17_130
; %bb.129:
	v_mul_hi_u32 v3, s40, v1
	v_add_u32_e32 v3, v1, v3
	v_lshrrev_b32_e32 v3, s41, v3
	v_mul_lo_u32 v3, v3, s27
	v_sub_u32_e32 v3, v1, v3
	v_mad_u64_u32 v[0:1], s[0:1], v3, s22, v[0:1]
	v_mad_u64_u32 v[2:3], s[0:1], v3, s23, v[2:3]
.LBB17_130:
	s_waitcnt lgkmcnt(0)
	global_load_dword v1, v2, s[18:19]
	s_mov_b32 s0, 0x41000000
                                        ; implicit-def: $vgpr2
	s_waitcnt vmcnt(0)
	v_cmp_le_f32_e64 s[0:1], |v1|, s0
	s_and_saveexec_b64 s[2:3], s[0:1]
	s_xor_b64 s[2:3], exec, s[2:3]
	s_cbranch_execz .LBB17_136
; %bb.131:
	v_fma_f32 v2, |v1|, 0.5, -2.0
	v_mov_b32_e32 v3, 0xa3c2be86
	v_fmac_f32_e32 v3, 0x224cf950, v2
	v_mov_b32_e32 v5, 0xa24cf950
	v_fmac_f32_e32 v5, v2, v3
	v_add_f32_e32 v5, 0x25331f1f, v5
	v_fma_f32 v3, v2, v5, -v3
	v_add_f32_e32 v3, 0xa69f5554, v3
	v_fma_f32 v5, v2, v3, -v5
	;; [unrolled: 2-line block ×25, first 2 shown]
	v_add_f32_e32 v3, 0xbe34a688, v3
	s_mov_b32 s0, 0x3fb8aa3b
	v_fma_f32 v2, v2, v3, -v5
	v_mul_f32_e64 v3, |v1|, s0
	v_rndne_f32_e32 v6, v3
	v_sub_f32_e32 v7, v3, v6
	v_fma_f32 v3, |v1|, s0, -v3
	s_mov_b32 s0, 0x32a5705f
	v_fma_f32 v3, |v1|, s0, v3
	v_add_f32_e32 v3, v7, v3
	v_exp_f32_e32 v7, v3
	v_cvt_i32_f32_e32 v6, v6
	v_add_f32_e32 v2, 0x3e81531c, v2
	v_sub_f32_e32 v2, v2, v5
	v_mul_f32_e32 v2, 0.5, v2
	s_mov_b32 s0, 0xc2ce8ed0
	v_mul_f32_e64 v3, |v1|, v2
	v_ldexp_f32 v2, v7, v6
	v_cmp_nlt_f32_e64 s[0:1], |v1|, s0
	v_cndmask_b32_e64 v2, 0, v2, s[0:1]
	s_mov_b32 s0, 0x42b17218
	v_mov_b32_e32 v5, 0x7f800000
	v_cmp_ngt_f32_e64 s[0:1], |v1|, s0
	v_cmp_ngt_f32_e32 vcc, 0, v1
	v_cndmask_b32_e64 v1, v5, v2, s[0:1]
                                        ; implicit-def: $vgpr2
	s_and_saveexec_b64 s[0:1], vcc
	s_xor_b64 s[0:1], exec, s[0:1]
; %bb.132:
	v_mul_f32_e32 v2, v1, v3
                                        ; implicit-def: $vgpr1
                                        ; implicit-def: $vgpr3
; %bb.133:
	s_andn2_saveexec_b64 s[0:1], s[0:1]
; %bb.134:
	v_mul_f32_e64 v2, v3, -v1
; %bb.135:
	s_or_b64 exec, exec, s[0:1]
                                        ; implicit-def: $vgpr1
.LBB17_136:
	s_andn2_saveexec_b64 s[2:3], s[2:3]
	s_cbranch_execz .LBB17_142
; %bb.137:
	v_and_b32_e32 v2, 0x7fffffff, v1
	s_mov_b32 s4, 0x42000000
	v_div_scale_f32 v3, s[0:1], v2, v2, s4
	v_div_scale_f32 v2, vcc, s4, v2, s4
	s_mov_b32 s5, 0x3fb8aa3b
	s_mov_b32 s6, 0x32a5705f
	v_mov_b32_e32 v5, 0x22a2dc57
	v_mov_b32_e32 v7, 0xa30aab6e
	v_cmp_ngt_f32_e64 s[0:1], 0, v1
	v_rcp_f32_e32 v6, v3
	v_fma_f32 v8, -v3, v6, 1.0
	v_fmac_f32_e32 v6, v8, v6
	v_mul_f32_e32 v8, v2, v6
	v_fma_f32 v9, -v3, v8, v2
	v_fmac_f32_e32 v8, v9, v6
	v_fma_f32 v2, -v3, v8, v2
	v_div_fmas_f32 v2, v2, v6, v8
	v_mul_f32_e64 v3, |v1|, s5
	v_rndne_f32_e32 v6, v3
	v_fma_f32 v8, |v1|, s5, -v3
	v_sub_f32_e32 v3, v3, v6
	v_fma_f32 v8, |v1|, s6, v8
	v_add_f32_e32 v3, v3, v8
	v_cvt_i32_f32_e32 v6, v6
	v_exp_f32_e32 v3, v3
	s_mov_b32 s5, 0xc2ce8ed0
	s_mov_b32 s6, 0x42b17218
	v_cmp_nlt_f32_e64 vcc, |v1|, s5
	v_ldexp_f32 v3, v3, v6
	v_mov_b32_e32 v8, 0x7f800000
	v_cndmask_b32_e32 v3, 0, v3, vcc
	v_cmp_ngt_f32_e64 vcc, |v1|, s6
	v_div_fixup_f32 v2, v2, |v1|, s4
	v_add_f32_e32 v2, -2.0, v2
	v_fmac_f32_e32 v5, 0x230aab6e, v2
	v_fmac_f32_e32 v7, v2, v5
	v_add_f32_e32 v6, 0xa456751e, v7
	v_fma_f32 v5, v2, v6, -v5
	v_add_f32_e32 v5, 0xa4140365, v5
	v_fma_f32 v6, v2, v5, -v6
	;; [unrolled: 2-line block ×22, first 2 shown]
	v_add_f32_e32 v2, 0x3f4750c6, v2
	v_cndmask_b32_e32 v3, v8, v3, vcc
	v_sub_f32_e32 v5, v2, v6
                                        ; implicit-def: $vgpr2
	s_and_saveexec_b64 s[4:5], s[0:1]
	s_xor_b64 s[4:5], exec, s[4:5]
	s_cbranch_execz .LBB17_139
; %bb.138:
	s_mov_b32 s0, 0xf800000
	s_mov_b32 s1, 0x4f800000
	v_mul_f32_e64 v2, |v1|, s1
	v_cmp_lt_f32_e64 vcc, |v1|, s0
	v_cndmask_b32_e64 v1, |v1|, v2, vcc
	v_sqrt_f32_e32 v2, v1
	v_mul_f32_e32 v5, 0.5, v5
	v_mul_f32_e32 v3, v3, v5
	v_add_u32_e32 v5, -1, v2
	v_fma_f32 v6, -v5, v2, v1
	v_cmp_ge_f32_e64 s[0:1], 0, v6
	v_add_u32_e32 v6, 1, v2
	v_cndmask_b32_e64 v5, v2, v5, s[0:1]
	v_fma_f32 v2, -v6, v2, v1
	v_cmp_lt_f32_e64 s[0:1], 0, v2
	v_cndmask_b32_e64 v2, v5, v6, s[0:1]
	v_mul_f32_e32 v5, 0x37800000, v2
	v_cndmask_b32_e32 v2, v2, v5, vcc
	v_mov_b32_e32 v5, 0x260
	v_cmp_class_f32_e32 vcc, v1, v5
	v_cndmask_b32_e32 v1, v2, v1, vcc
	v_div_scale_f32 v2, s[0:1], v1, v1, v3
	v_div_scale_f32 v5, vcc, v3, v1, v3
	v_rcp_f32_e32 v6, v2
	v_fma_f32 v7, -v2, v6, 1.0
	v_fmac_f32_e32 v6, v7, v6
	v_mul_f32_e32 v7, v5, v6
	v_fma_f32 v8, -v2, v7, v5
	v_fmac_f32_e32 v7, v8, v6
	v_fma_f32 v2, -v2, v7, v5
	v_div_fmas_f32 v2, v2, v6, v7
                                        ; implicit-def: $vgpr5
	v_div_fixup_f32 v2, v2, v1, v3
                                        ; implicit-def: $vgpr1
                                        ; implicit-def: $vgpr3
.LBB17_139:
	s_andn2_saveexec_b64 s[4:5], s[4:5]
	s_cbranch_execz .LBB17_141
; %bb.140:
	s_mov_b32 s0, 0xf800000
	s_mov_b32 s1, 0x4f800000
	v_mul_f32_e64 v2, |v1|, s1
	v_cmp_lt_f32_e64 vcc, |v1|, s0
	v_cndmask_b32_e64 v1, |v1|, v2, vcc
	v_sqrt_f32_e32 v2, v1
	v_add_u32_e32 v6, -1, v2
	v_fma_f32 v7, -v6, v2, v1
	v_cmp_ge_f32_e64 s[0:1], 0, v7
	v_add_u32_e32 v7, 1, v2
	v_cndmask_b32_e64 v6, v2, v6, s[0:1]
	v_fma_f32 v2, -v7, v2, v1
	v_cmp_lt_f32_e64 s[0:1], 0, v2
	v_cndmask_b32_e64 v2, v6, v7, s[0:1]
	v_mul_f32_e32 v6, 0x37800000, v2
	v_cndmask_b32_e32 v2, v2, v6, vcc
	v_mov_b32_e32 v6, 0x260
	v_cmp_class_f32_e32 vcc, v1, v6
	v_cndmask_b32_e32 v1, v2, v1, vcc
	v_mul_f32_e32 v2, -0.5, v5
	v_mul_f32_e32 v2, v3, v2
	v_div_scale_f32 v3, s[0:1], v1, v1, v2
	v_div_scale_f32 v5, vcc, v2, v1, v2
	v_rcp_f32_e32 v6, v3
	v_fma_f32 v7, -v3, v6, 1.0
	v_fmac_f32_e32 v6, v7, v6
	v_mul_f32_e32 v7, v5, v6
	v_fma_f32 v8, -v3, v7, v5
	v_fmac_f32_e32 v7, v8, v6
	v_fma_f32 v3, -v3, v7, v5
	v_div_fmas_f32 v3, v3, v6, v7
	v_div_fixup_f32 v2, v3, v1, v2
.LBB17_141:
	s_or_b64 exec, exec, s[4:5]
.LBB17_142:
	s_or_b64 exec, exec, s[2:3]
	v_add_u32_e32 v4, 0x80, v4
	global_store_dword v0, v2, s[16:17]
	s_or_b64 exec, exec, s[48:49]
	v_cmp_gt_i32_e32 vcc, s55, v4
	s_and_saveexec_b64 s[48:49], vcc
	s_cbranch_execnz .LBB17_15
.LBB17_143:
	s_or_b64 exec, exec, s[48:49]
	v_cmp_gt_i32_e32 vcc, s55, v4
	s_and_saveexec_b64 s[48:49], vcc
	s_cbranch_execz .LBB17_171
.LBB17_144:
	s_andn2_b64 vcc, exec, s[36:37]
	s_cbranch_vccnz .LBB17_149
; %bb.145:
	s_andn2_b64 vcc, exec, s[46:47]
	s_cbranch_vccnz .LBB17_150
; %bb.146:
	s_add_i32 s58, s56, 1
	s_cmp_eq_u32 s54, 2
	s_cbranch_scc1 .LBB17_174
; %bb.147:
	s_and_b32 s57, s58, 28
	v_mov_b32_e32 v2, 0
	s_mov_b32 s59, 0
	s_mov_b64 s[50:51], s[34:35]
	s_mov_b64 s[52:53], s[44:45]
	v_mov_b32_e32 v0, 0
	v_mov_b32_e32 v1, v4
.LBB17_148:                             ; =>This Inner Loop Header: Depth=1
	s_load_dwordx8 s[8:15], s[50:51], 0x4
	s_load_dwordx4 s[28:31], s[50:51], 0x24
	s_load_dwordx8 s[0:7], s[52:53], 0x0
	s_add_u32 s50, s50, 48
	s_addc_u32 s51, s51, 0
	s_waitcnt lgkmcnt(0)
	v_mul_hi_u32 v3, s9, v1
	s_add_i32 s59, s59, 4
	s_add_u32 s52, s52, 32
	s_addc_u32 s53, s53, 0
	v_add_u32_e32 v3, v1, v3
	v_lshrrev_b32_e32 v3, s10, v3
	v_mul_lo_u32 v5, v3, s8
	v_mul_hi_u32 v6, s12, v3
	s_cmp_eq_u32 s57, s59
	v_sub_u32_e32 v1, v1, v5
	v_add_u32_e32 v5, v3, v6
	v_mul_lo_u32 v6, v1, s0
	v_mul_lo_u32 v7, v1, s1
	v_lshrrev_b32_e32 v1, s13, v5
	v_mul_lo_u32 v5, v1, s11
	v_mul_hi_u32 v8, s15, v1
	v_sub_u32_e32 v3, v3, v5
	v_add_u32_e32 v5, v1, v8
	v_lshrrev_b32_e32 v5, s28, v5
	v_mul_hi_u32 v9, s30, v5
	v_mul_lo_u32 v10, v5, s14
	v_mul_lo_u32 v8, v3, s2
	;; [unrolled: 1-line block ×3, first 2 shown]
	v_sub_u32_e32 v10, v1, v10
	v_add_u32_e32 v1, v5, v9
	v_lshrrev_b32_e32 v1, s31, v1
	v_mul_lo_u32 v9, v1, s29
	v_mul_lo_u32 v11, v10, s4
	;; [unrolled: 1-line block ×3, first 2 shown]
	v_add3_u32 v0, v6, v0, v8
	v_sub_u32_e32 v5, v5, v9
	v_mul_lo_u32 v9, v5, s6
	v_mul_lo_u32 v5, v5, s7
	v_add3_u32 v2, v7, v2, v3
	v_add3_u32 v0, v11, v0, v9
	;; [unrolled: 1-line block ×3, first 2 shown]
	s_cbranch_scc0 .LBB17_148
	s_branch .LBB17_175
.LBB17_149:
                                        ; implicit-def: $vgpr0
                                        ; implicit-def: $vgpr2
	s_branch .LBB17_179
.LBB17_150:
	v_mov_b32_e32 v0, 0
	v_mov_b32_e32 v2, 0
	s_branch .LBB17_178
.LBB17_151:
	s_mov_b32 s57, 0
	v_mov_b32_e32 v0, 0
	v_mov_b32_e32 v2, 0
	;; [unrolled: 1-line block ×3, first 2 shown]
.LBB17_152:
	s_and_b32 s4, s58, 3
	s_cmp_eq_u32 s4, 0
	s_cbranch_scc1 .LBB17_155
; %bb.153:
	s_lshl_b32 s0, s57, 3
	s_add_u32 s0, s34, s0
	s_addc_u32 s1, s35, 0
	s_add_u32 s0, s0, 0xc4
	s_addc_u32 s1, s1, 0
	s_mul_i32 s2, s57, 12
	s_add_u32 s2, s34, s2
	s_addc_u32 s3, s35, 0
.LBB17_154:                             ; =>This Inner Loop Header: Depth=1
	s_load_dwordx2 s[6:7], s[2:3], 0x4
	s_load_dword s5, s[2:3], 0xc
	s_load_dwordx2 s[8:9], s[0:1], 0x0
	s_add_u32 s2, s2, 12
	s_addc_u32 s3, s3, 0
	s_waitcnt lgkmcnt(0)
	v_mul_hi_u32 v3, s7, v1
	s_add_u32 s0, s0, 8
	s_addc_u32 s1, s1, 0
	s_add_i32 s4, s4, -1
	v_add_u32_e32 v3, v1, v3
	v_lshrrev_b32_e32 v5, s5, v3
	v_mul_lo_u32 v3, v5, s6
	s_cmp_lg_u32 s4, 0
	v_sub_u32_e32 v3, v1, v3
	v_mad_u64_u32 v[0:1], s[6:7], v3, s8, v[0:1]
	v_mad_u64_u32 v[2:3], s[6:7], v3, s9, v[2:3]
	v_mov_b32_e32 v1, v5
	s_cbranch_scc1 .LBB17_154
.LBB17_155:
	s_cbranch_execnz .LBB17_158
.LBB17_156:
	s_waitcnt lgkmcnt(0)
	v_mul_hi_u32 v0, s25, v4
	s_andn2_b64 vcc, exec, s[42:43]
	v_add_u32_e32 v0, v4, v0
	v_lshrrev_b32_e32 v1, s26, v0
	v_mul_lo_u32 v0, v1, s24
	v_sub_u32_e32 v2, v4, v0
	v_mul_lo_u32 v0, v2, s20
	v_mul_lo_u32 v2, v2, s21
	s_cbranch_vccnz .LBB17_158
; %bb.157:
	v_mul_hi_u32 v3, s40, v1
	v_add_u32_e32 v3, v1, v3
	v_lshrrev_b32_e32 v3, s41, v3
	v_mul_lo_u32 v3, v3, s27
	v_sub_u32_e32 v3, v1, v3
	v_mad_u64_u32 v[0:1], s[0:1], v3, s22, v[0:1]
	v_mad_u64_u32 v[2:3], s[0:1], v3, s23, v[2:3]
.LBB17_158:
	s_waitcnt lgkmcnt(0)
	global_load_dword v1, v2, s[18:19]
	s_mov_b32 s0, 0x41000000
                                        ; implicit-def: $vgpr2
	s_waitcnt vmcnt(0)
	v_cmp_le_f32_e64 s[0:1], |v1|, s0
	s_and_saveexec_b64 s[2:3], s[0:1]
	s_xor_b64 s[2:3], exec, s[2:3]
	s_cbranch_execz .LBB17_164
; %bb.159:
	v_fma_f32 v2, |v1|, 0.5, -2.0
	v_mov_b32_e32 v3, 0xa3c2be86
	v_fmac_f32_e32 v3, 0x224cf950, v2
	v_mov_b32_e32 v5, 0xa24cf950
	v_fmac_f32_e32 v5, v2, v3
	v_add_f32_e32 v5, 0x25331f1f, v5
	v_fma_f32 v3, v2, v5, -v3
	v_add_f32_e32 v3, 0xa69f5554, v3
	v_fma_f32 v5, v2, v3, -v5
	;; [unrolled: 2-line block ×25, first 2 shown]
	v_add_f32_e32 v3, 0xbe34a688, v3
	s_mov_b32 s0, 0x3fb8aa3b
	v_fma_f32 v2, v2, v3, -v5
	v_mul_f32_e64 v3, |v1|, s0
	v_rndne_f32_e32 v6, v3
	v_sub_f32_e32 v7, v3, v6
	v_fma_f32 v3, |v1|, s0, -v3
	s_mov_b32 s0, 0x32a5705f
	v_fma_f32 v3, |v1|, s0, v3
	v_add_f32_e32 v3, v7, v3
	v_exp_f32_e32 v7, v3
	v_cvt_i32_f32_e32 v6, v6
	v_add_f32_e32 v2, 0x3e81531c, v2
	v_sub_f32_e32 v2, v2, v5
	v_mul_f32_e32 v2, 0.5, v2
	s_mov_b32 s0, 0xc2ce8ed0
	v_mul_f32_e64 v3, |v1|, v2
	v_ldexp_f32 v2, v7, v6
	v_cmp_nlt_f32_e64 s[0:1], |v1|, s0
	v_cndmask_b32_e64 v2, 0, v2, s[0:1]
	s_mov_b32 s0, 0x42b17218
	v_mov_b32_e32 v5, 0x7f800000
	v_cmp_ngt_f32_e64 s[0:1], |v1|, s0
	v_cmp_ngt_f32_e32 vcc, 0, v1
	v_cndmask_b32_e64 v1, v5, v2, s[0:1]
                                        ; implicit-def: $vgpr2
	s_and_saveexec_b64 s[0:1], vcc
	s_xor_b64 s[0:1], exec, s[0:1]
; %bb.160:
	v_mul_f32_e32 v2, v1, v3
                                        ; implicit-def: $vgpr1
                                        ; implicit-def: $vgpr3
; %bb.161:
	s_andn2_saveexec_b64 s[0:1], s[0:1]
; %bb.162:
	v_mul_f32_e64 v2, v3, -v1
; %bb.163:
	s_or_b64 exec, exec, s[0:1]
                                        ; implicit-def: $vgpr1
.LBB17_164:
	s_andn2_saveexec_b64 s[2:3], s[2:3]
	s_cbranch_execz .LBB17_170
; %bb.165:
	v_and_b32_e32 v2, 0x7fffffff, v1
	s_mov_b32 s4, 0x42000000
	v_div_scale_f32 v3, s[0:1], v2, v2, s4
	v_div_scale_f32 v2, vcc, s4, v2, s4
	s_mov_b32 s5, 0x3fb8aa3b
	s_mov_b32 s6, 0x32a5705f
	v_mov_b32_e32 v5, 0x22a2dc57
	v_mov_b32_e32 v7, 0xa30aab6e
	v_cmp_ngt_f32_e64 s[0:1], 0, v1
	v_rcp_f32_e32 v6, v3
	v_fma_f32 v8, -v3, v6, 1.0
	v_fmac_f32_e32 v6, v8, v6
	v_mul_f32_e32 v8, v2, v6
	v_fma_f32 v9, -v3, v8, v2
	v_fmac_f32_e32 v8, v9, v6
	v_fma_f32 v2, -v3, v8, v2
	v_div_fmas_f32 v2, v2, v6, v8
	v_mul_f32_e64 v3, |v1|, s5
	v_rndne_f32_e32 v6, v3
	v_fma_f32 v8, |v1|, s5, -v3
	v_sub_f32_e32 v3, v3, v6
	v_fma_f32 v8, |v1|, s6, v8
	v_add_f32_e32 v3, v3, v8
	v_cvt_i32_f32_e32 v6, v6
	v_exp_f32_e32 v3, v3
	s_mov_b32 s5, 0xc2ce8ed0
	s_mov_b32 s6, 0x42b17218
	v_cmp_nlt_f32_e64 vcc, |v1|, s5
	v_ldexp_f32 v3, v3, v6
	v_mov_b32_e32 v8, 0x7f800000
	v_cndmask_b32_e32 v3, 0, v3, vcc
	v_cmp_ngt_f32_e64 vcc, |v1|, s6
	v_div_fixup_f32 v2, v2, |v1|, s4
	v_add_f32_e32 v2, -2.0, v2
	v_fmac_f32_e32 v5, 0x230aab6e, v2
	v_fmac_f32_e32 v7, v2, v5
	v_add_f32_e32 v6, 0xa456751e, v7
	v_fma_f32 v5, v2, v6, -v5
	v_add_f32_e32 v5, 0xa4140365, v5
	v_fma_f32 v6, v2, v5, -v6
	;; [unrolled: 2-line block ×22, first 2 shown]
	v_add_f32_e32 v2, 0x3f4750c6, v2
	v_cndmask_b32_e32 v3, v8, v3, vcc
	v_sub_f32_e32 v5, v2, v6
                                        ; implicit-def: $vgpr2
	s_and_saveexec_b64 s[4:5], s[0:1]
	s_xor_b64 s[4:5], exec, s[4:5]
	s_cbranch_execz .LBB17_167
; %bb.166:
	s_mov_b32 s0, 0xf800000
	s_mov_b32 s1, 0x4f800000
	v_mul_f32_e64 v2, |v1|, s1
	v_cmp_lt_f32_e64 vcc, |v1|, s0
	v_cndmask_b32_e64 v1, |v1|, v2, vcc
	v_sqrt_f32_e32 v2, v1
	v_mul_f32_e32 v5, 0.5, v5
	v_mul_f32_e32 v3, v3, v5
	v_add_u32_e32 v5, -1, v2
	v_fma_f32 v6, -v5, v2, v1
	v_cmp_ge_f32_e64 s[0:1], 0, v6
	v_add_u32_e32 v6, 1, v2
	v_cndmask_b32_e64 v5, v2, v5, s[0:1]
	v_fma_f32 v2, -v6, v2, v1
	v_cmp_lt_f32_e64 s[0:1], 0, v2
	v_cndmask_b32_e64 v2, v5, v6, s[0:1]
	v_mul_f32_e32 v5, 0x37800000, v2
	v_cndmask_b32_e32 v2, v2, v5, vcc
	v_mov_b32_e32 v5, 0x260
	v_cmp_class_f32_e32 vcc, v1, v5
	v_cndmask_b32_e32 v1, v2, v1, vcc
	v_div_scale_f32 v2, s[0:1], v1, v1, v3
	v_div_scale_f32 v5, vcc, v3, v1, v3
	v_rcp_f32_e32 v6, v2
	v_fma_f32 v7, -v2, v6, 1.0
	v_fmac_f32_e32 v6, v7, v6
	v_mul_f32_e32 v7, v5, v6
	v_fma_f32 v8, -v2, v7, v5
	v_fmac_f32_e32 v7, v8, v6
	v_fma_f32 v2, -v2, v7, v5
	v_div_fmas_f32 v2, v2, v6, v7
                                        ; implicit-def: $vgpr5
	v_div_fixup_f32 v2, v2, v1, v3
                                        ; implicit-def: $vgpr1
                                        ; implicit-def: $vgpr3
.LBB17_167:
	s_andn2_saveexec_b64 s[4:5], s[4:5]
	s_cbranch_execz .LBB17_169
; %bb.168:
	s_mov_b32 s0, 0xf800000
	s_mov_b32 s1, 0x4f800000
	v_mul_f32_e64 v2, |v1|, s1
	v_cmp_lt_f32_e64 vcc, |v1|, s0
	v_cndmask_b32_e64 v1, |v1|, v2, vcc
	v_sqrt_f32_e32 v2, v1
	v_add_u32_e32 v6, -1, v2
	v_fma_f32 v7, -v6, v2, v1
	v_cmp_ge_f32_e64 s[0:1], 0, v7
	v_add_u32_e32 v7, 1, v2
	v_cndmask_b32_e64 v6, v2, v6, s[0:1]
	v_fma_f32 v2, -v7, v2, v1
	v_cmp_lt_f32_e64 s[0:1], 0, v2
	v_cndmask_b32_e64 v2, v6, v7, s[0:1]
	v_mul_f32_e32 v6, 0x37800000, v2
	v_cndmask_b32_e32 v2, v2, v6, vcc
	v_mov_b32_e32 v6, 0x260
	v_cmp_class_f32_e32 vcc, v1, v6
	v_cndmask_b32_e32 v1, v2, v1, vcc
	v_mul_f32_e32 v2, -0.5, v5
	v_mul_f32_e32 v2, v3, v2
	v_div_scale_f32 v3, s[0:1], v1, v1, v2
	v_div_scale_f32 v5, vcc, v2, v1, v2
	v_rcp_f32_e32 v6, v3
	v_fma_f32 v7, -v3, v6, 1.0
	v_fmac_f32_e32 v6, v7, v6
	v_mul_f32_e32 v7, v5, v6
	v_fma_f32 v8, -v3, v7, v5
	v_fmac_f32_e32 v7, v8, v6
	v_fma_f32 v3, -v3, v7, v5
	v_div_fmas_f32 v3, v3, v6, v7
	v_div_fixup_f32 v2, v3, v1, v2
.LBB17_169:
	s_or_b64 exec, exec, s[4:5]
.LBB17_170:
	s_or_b64 exec, exec, s[2:3]
	v_add_u32_e32 v4, 0x80, v4
	global_store_dword v0, v2, s[16:17]
	s_or_b64 exec, exec, s[48:49]
	v_cmp_gt_i32_e32 vcc, s55, v4
	s_and_saveexec_b64 s[48:49], vcc
	s_cbranch_execnz .LBB17_144
.LBB17_171:
	s_or_b64 exec, exec, s[48:49]
	v_cmp_gt_i32_e32 vcc, s55, v4
	s_and_saveexec_b64 s[48:49], vcc
	s_cbranch_execnz .LBB17_194
.LBB17_172:
	s_or_b64 exec, exec, s[48:49]
                                        ; implicit-def: $vgpr13
                                        ; implicit-def: $vgpr4
	s_andn2_saveexec_b64 s[0:1], s[38:39]
	s_cbranch_execnz .LBB17_8
.LBB17_173:
	s_endpgm
.LBB17_174:
	s_mov_b32 s57, 0
	v_mov_b32_e32 v0, 0
	v_mov_b32_e32 v2, 0
	;; [unrolled: 1-line block ×3, first 2 shown]
.LBB17_175:
	s_and_b32 s4, s58, 3
	s_cmp_eq_u32 s4, 0
	s_cbranch_scc1 .LBB17_178
; %bb.176:
	s_lshl_b32 s0, s57, 3
	s_add_u32 s0, s34, s0
	s_addc_u32 s1, s35, 0
	s_add_u32 s0, s0, 0xc4
	s_addc_u32 s1, s1, 0
	s_mul_i32 s2, s57, 12
	s_add_u32 s2, s34, s2
	s_addc_u32 s3, s35, 0
.LBB17_177:                             ; =>This Inner Loop Header: Depth=1
	s_load_dwordx2 s[6:7], s[2:3], 0x4
	s_load_dword s5, s[2:3], 0xc
	s_load_dwordx2 s[8:9], s[0:1], 0x0
	s_add_u32 s2, s2, 12
	s_addc_u32 s3, s3, 0
	s_waitcnt lgkmcnt(0)
	v_mul_hi_u32 v3, s7, v1
	s_add_u32 s0, s0, 8
	s_addc_u32 s1, s1, 0
	s_add_i32 s4, s4, -1
	v_add_u32_e32 v3, v1, v3
	v_lshrrev_b32_e32 v5, s5, v3
	v_mul_lo_u32 v3, v5, s6
	s_cmp_lg_u32 s4, 0
	v_sub_u32_e32 v3, v1, v3
	v_mad_u64_u32 v[0:1], s[6:7], v3, s8, v[0:1]
	v_mad_u64_u32 v[2:3], s[6:7], v3, s9, v[2:3]
	v_mov_b32_e32 v1, v5
	s_cbranch_scc1 .LBB17_177
.LBB17_178:
	s_cbranch_execnz .LBB17_181
.LBB17_179:
	s_waitcnt lgkmcnt(0)
	v_mul_hi_u32 v0, s25, v4
	s_andn2_b64 vcc, exec, s[42:43]
	v_add_u32_e32 v0, v4, v0
	v_lshrrev_b32_e32 v1, s26, v0
	v_mul_lo_u32 v0, v1, s24
	v_sub_u32_e32 v2, v4, v0
	v_mul_lo_u32 v0, v2, s20
	v_mul_lo_u32 v2, v2, s21
	s_cbranch_vccnz .LBB17_181
; %bb.180:
	v_mul_hi_u32 v3, s40, v1
	v_add_u32_e32 v3, v1, v3
	v_lshrrev_b32_e32 v3, s41, v3
	v_mul_lo_u32 v3, v3, s27
	v_sub_u32_e32 v3, v1, v3
	v_mad_u64_u32 v[0:1], s[0:1], v3, s22, v[0:1]
	v_mad_u64_u32 v[2:3], s[0:1], v3, s23, v[2:3]
.LBB17_181:
	s_waitcnt lgkmcnt(0)
	global_load_dword v1, v2, s[18:19]
	s_mov_b32 s0, 0x41000000
                                        ; implicit-def: $vgpr2
	s_waitcnt vmcnt(0)
	v_cmp_le_f32_e64 s[0:1], |v1|, s0
	s_and_saveexec_b64 s[2:3], s[0:1]
	s_xor_b64 s[2:3], exec, s[2:3]
	s_cbranch_execz .LBB17_187
; %bb.182:
	v_fma_f32 v2, |v1|, 0.5, -2.0
	v_mov_b32_e32 v3, 0xa3c2be86
	v_fmac_f32_e32 v3, 0x224cf950, v2
	v_mov_b32_e32 v5, 0xa24cf950
	v_fmac_f32_e32 v5, v2, v3
	v_add_f32_e32 v5, 0x25331f1f, v5
	v_fma_f32 v3, v2, v5, -v3
	v_add_f32_e32 v3, 0xa69f5554, v3
	v_fma_f32 v5, v2, v3, -v5
	;; [unrolled: 2-line block ×25, first 2 shown]
	v_add_f32_e32 v3, 0xbe34a688, v3
	s_mov_b32 s0, 0x3fb8aa3b
	v_fma_f32 v2, v2, v3, -v5
	v_mul_f32_e64 v3, |v1|, s0
	v_rndne_f32_e32 v6, v3
	v_sub_f32_e32 v7, v3, v6
	v_fma_f32 v3, |v1|, s0, -v3
	s_mov_b32 s0, 0x32a5705f
	v_fma_f32 v3, |v1|, s0, v3
	v_add_f32_e32 v3, v7, v3
	v_exp_f32_e32 v7, v3
	v_cvt_i32_f32_e32 v6, v6
	v_add_f32_e32 v2, 0x3e81531c, v2
	v_sub_f32_e32 v2, v2, v5
	v_mul_f32_e32 v2, 0.5, v2
	s_mov_b32 s0, 0xc2ce8ed0
	v_mul_f32_e64 v3, |v1|, v2
	v_ldexp_f32 v2, v7, v6
	v_cmp_nlt_f32_e64 s[0:1], |v1|, s0
	v_cndmask_b32_e64 v2, 0, v2, s[0:1]
	s_mov_b32 s0, 0x42b17218
	v_mov_b32_e32 v5, 0x7f800000
	v_cmp_ngt_f32_e64 s[0:1], |v1|, s0
	v_cmp_ngt_f32_e32 vcc, 0, v1
	v_cndmask_b32_e64 v1, v5, v2, s[0:1]
                                        ; implicit-def: $vgpr2
	s_and_saveexec_b64 s[0:1], vcc
	s_xor_b64 s[0:1], exec, s[0:1]
; %bb.183:
	v_mul_f32_e32 v2, v1, v3
                                        ; implicit-def: $vgpr1
                                        ; implicit-def: $vgpr3
; %bb.184:
	s_andn2_saveexec_b64 s[0:1], s[0:1]
; %bb.185:
	v_mul_f32_e64 v2, v3, -v1
; %bb.186:
	s_or_b64 exec, exec, s[0:1]
                                        ; implicit-def: $vgpr1
.LBB17_187:
	s_andn2_saveexec_b64 s[2:3], s[2:3]
	s_cbranch_execz .LBB17_193
; %bb.188:
	v_and_b32_e32 v2, 0x7fffffff, v1
	s_mov_b32 s4, 0x42000000
	v_div_scale_f32 v3, s[0:1], v2, v2, s4
	v_div_scale_f32 v2, vcc, s4, v2, s4
	s_mov_b32 s5, 0x3fb8aa3b
	s_mov_b32 s6, 0x32a5705f
	v_mov_b32_e32 v5, 0x22a2dc57
	v_mov_b32_e32 v7, 0xa30aab6e
	v_cmp_ngt_f32_e64 s[0:1], 0, v1
	v_rcp_f32_e32 v6, v3
	v_fma_f32 v8, -v3, v6, 1.0
	v_fmac_f32_e32 v6, v8, v6
	v_mul_f32_e32 v8, v2, v6
	v_fma_f32 v9, -v3, v8, v2
	v_fmac_f32_e32 v8, v9, v6
	v_fma_f32 v2, -v3, v8, v2
	v_div_fmas_f32 v2, v2, v6, v8
	v_mul_f32_e64 v3, |v1|, s5
	v_rndne_f32_e32 v6, v3
	v_fma_f32 v8, |v1|, s5, -v3
	v_sub_f32_e32 v3, v3, v6
	v_fma_f32 v8, |v1|, s6, v8
	v_add_f32_e32 v3, v3, v8
	v_cvt_i32_f32_e32 v6, v6
	v_exp_f32_e32 v3, v3
	s_mov_b32 s5, 0xc2ce8ed0
	s_mov_b32 s6, 0x42b17218
	v_cmp_nlt_f32_e64 vcc, |v1|, s5
	v_ldexp_f32 v3, v3, v6
	v_mov_b32_e32 v8, 0x7f800000
	v_cndmask_b32_e32 v3, 0, v3, vcc
	v_cmp_ngt_f32_e64 vcc, |v1|, s6
	v_div_fixup_f32 v2, v2, |v1|, s4
	v_add_f32_e32 v2, -2.0, v2
	v_fmac_f32_e32 v5, 0x230aab6e, v2
	v_fmac_f32_e32 v7, v2, v5
	v_add_f32_e32 v6, 0xa456751e, v7
	v_fma_f32 v5, v2, v6, -v5
	v_add_f32_e32 v5, 0xa4140365, v5
	v_fma_f32 v6, v2, v5, -v6
	;; [unrolled: 2-line block ×22, first 2 shown]
	v_add_f32_e32 v2, 0x3f4750c6, v2
	v_cndmask_b32_e32 v3, v8, v3, vcc
	v_sub_f32_e32 v5, v2, v6
                                        ; implicit-def: $vgpr2
	s_and_saveexec_b64 s[4:5], s[0:1]
	s_xor_b64 s[4:5], exec, s[4:5]
	s_cbranch_execz .LBB17_190
; %bb.189:
	s_mov_b32 s0, 0xf800000
	s_mov_b32 s1, 0x4f800000
	v_mul_f32_e64 v2, |v1|, s1
	v_cmp_lt_f32_e64 vcc, |v1|, s0
	v_cndmask_b32_e64 v1, |v1|, v2, vcc
	v_sqrt_f32_e32 v2, v1
	v_mul_f32_e32 v5, 0.5, v5
	v_mul_f32_e32 v3, v3, v5
	v_add_u32_e32 v5, -1, v2
	v_fma_f32 v6, -v5, v2, v1
	v_cmp_ge_f32_e64 s[0:1], 0, v6
	v_add_u32_e32 v6, 1, v2
	v_cndmask_b32_e64 v5, v2, v5, s[0:1]
	v_fma_f32 v2, -v6, v2, v1
	v_cmp_lt_f32_e64 s[0:1], 0, v2
	v_cndmask_b32_e64 v2, v5, v6, s[0:1]
	v_mul_f32_e32 v5, 0x37800000, v2
	v_cndmask_b32_e32 v2, v2, v5, vcc
	v_mov_b32_e32 v5, 0x260
	v_cmp_class_f32_e32 vcc, v1, v5
	v_cndmask_b32_e32 v1, v2, v1, vcc
	v_div_scale_f32 v2, s[0:1], v1, v1, v3
	v_div_scale_f32 v5, vcc, v3, v1, v3
	v_rcp_f32_e32 v6, v2
	v_fma_f32 v7, -v2, v6, 1.0
	v_fmac_f32_e32 v6, v7, v6
	v_mul_f32_e32 v7, v5, v6
	v_fma_f32 v8, -v2, v7, v5
	v_fmac_f32_e32 v7, v8, v6
	v_fma_f32 v2, -v2, v7, v5
	v_div_fmas_f32 v2, v2, v6, v7
                                        ; implicit-def: $vgpr5
	v_div_fixup_f32 v2, v2, v1, v3
                                        ; implicit-def: $vgpr1
                                        ; implicit-def: $vgpr3
.LBB17_190:
	s_andn2_saveexec_b64 s[4:5], s[4:5]
	s_cbranch_execz .LBB17_192
; %bb.191:
	s_mov_b32 s0, 0xf800000
	s_mov_b32 s1, 0x4f800000
	v_mul_f32_e64 v2, |v1|, s1
	v_cmp_lt_f32_e64 vcc, |v1|, s0
	v_cndmask_b32_e64 v1, |v1|, v2, vcc
	v_sqrt_f32_e32 v2, v1
	v_add_u32_e32 v6, -1, v2
	v_fma_f32 v7, -v6, v2, v1
	v_cmp_ge_f32_e64 s[0:1], 0, v7
	v_add_u32_e32 v7, 1, v2
	v_cndmask_b32_e64 v6, v2, v6, s[0:1]
	v_fma_f32 v2, -v7, v2, v1
	v_cmp_lt_f32_e64 s[0:1], 0, v2
	v_cndmask_b32_e64 v2, v6, v7, s[0:1]
	v_mul_f32_e32 v6, 0x37800000, v2
	v_cndmask_b32_e32 v2, v2, v6, vcc
	v_mov_b32_e32 v6, 0x260
	v_cmp_class_f32_e32 vcc, v1, v6
	v_cndmask_b32_e32 v1, v2, v1, vcc
	v_mul_f32_e32 v2, -0.5, v5
	v_mul_f32_e32 v2, v3, v2
	v_div_scale_f32 v3, s[0:1], v1, v1, v2
	v_div_scale_f32 v5, vcc, v2, v1, v2
	v_rcp_f32_e32 v6, v3
	v_fma_f32 v7, -v3, v6, 1.0
	v_fmac_f32_e32 v6, v7, v6
	v_mul_f32_e32 v7, v5, v6
	v_fma_f32 v8, -v3, v7, v5
	v_fmac_f32_e32 v7, v8, v6
	v_fma_f32 v3, -v3, v7, v5
	v_div_fmas_f32 v3, v3, v6, v7
	v_div_fixup_f32 v2, v3, v1, v2
.LBB17_192:
	s_or_b64 exec, exec, s[4:5]
.LBB17_193:
	s_or_b64 exec, exec, s[2:3]
	v_add_u32_e32 v4, 0x80, v4
	global_store_dword v0, v2, s[16:17]
	s_or_b64 exec, exec, s[48:49]
	v_cmp_gt_i32_e32 vcc, s55, v4
	s_and_saveexec_b64 s[48:49], vcc
	s_cbranch_execz .LBB17_172
.LBB17_194:
	s_andn2_b64 vcc, exec, s[36:37]
	s_cbranch_vccnz .LBB17_199
; %bb.195:
	s_andn2_b64 vcc, exec, s[46:47]
	s_cbranch_vccnz .LBB17_200
; %bb.196:
	s_add_i32 s56, s56, 1
	s_cmp_eq_u32 s54, 2
	s_cbranch_scc1 .LBB17_201
; %bb.197:
	s_and_b32 s50, s56, 28
	v_mov_b32_e32 v2, 0
	s_mov_b32 s51, 0
	s_mov_b64 s[46:47], s[34:35]
	v_mov_b32_e32 v0, 0
	v_mov_b32_e32 v1, v4
.LBB17_198:                             ; =>This Inner Loop Header: Depth=1
	s_load_dwordx8 s[8:15], s[46:47], 0x4
	s_load_dwordx4 s[28:31], s[46:47], 0x24
	s_load_dwordx8 s[0:7], s[44:45], 0x0
	s_add_u32 s46, s46, 48
	s_addc_u32 s47, s47, 0
	s_waitcnt lgkmcnt(0)
	v_mul_hi_u32 v3, s9, v1
	s_add_i32 s51, s51, 4
	s_add_u32 s44, s44, 32
	s_addc_u32 s45, s45, 0
	v_add_u32_e32 v3, v1, v3
	v_lshrrev_b32_e32 v3, s10, v3
	v_mul_lo_u32 v5, v3, s8
	v_mul_hi_u32 v6, s12, v3
	s_cmp_eq_u32 s50, s51
	v_sub_u32_e32 v1, v1, v5
	v_add_u32_e32 v5, v3, v6
	v_mul_lo_u32 v6, v1, s0
	v_mul_lo_u32 v7, v1, s1
	v_lshrrev_b32_e32 v1, s13, v5
	v_mul_lo_u32 v5, v1, s11
	v_mul_hi_u32 v8, s15, v1
	v_sub_u32_e32 v3, v3, v5
	v_add_u32_e32 v5, v1, v8
	v_lshrrev_b32_e32 v5, s28, v5
	v_mul_hi_u32 v9, s30, v5
	v_mul_lo_u32 v10, v5, s14
	v_mul_lo_u32 v8, v3, s2
	;; [unrolled: 1-line block ×3, first 2 shown]
	v_sub_u32_e32 v10, v1, v10
	v_add_u32_e32 v1, v5, v9
	v_lshrrev_b32_e32 v1, s31, v1
	v_mul_lo_u32 v9, v1, s29
	v_mul_lo_u32 v11, v10, s4
	;; [unrolled: 1-line block ×3, first 2 shown]
	v_add3_u32 v0, v6, v0, v8
	v_sub_u32_e32 v5, v5, v9
	v_mul_lo_u32 v9, v5, s6
	v_mul_lo_u32 v5, v5, s7
	v_add3_u32 v2, v7, v2, v3
	v_add3_u32 v0, v11, v0, v9
	;; [unrolled: 1-line block ×3, first 2 shown]
	s_cbranch_scc0 .LBB17_198
	s_branch .LBB17_202
.LBB17_199:
                                        ; implicit-def: $vgpr0
                                        ; implicit-def: $vgpr2
	s_branch .LBB17_206
.LBB17_200:
	v_mov_b32_e32 v0, 0
	v_mov_b32_e32 v2, 0
	s_branch .LBB17_205
.LBB17_201:
	s_mov_b32 s50, 0
	v_mov_b32_e32 v0, 0
	v_mov_b32_e32 v2, 0
	;; [unrolled: 1-line block ×3, first 2 shown]
.LBB17_202:
	s_and_b32 s4, s56, 3
	s_cmp_eq_u32 s4, 0
	s_cbranch_scc1 .LBB17_205
; %bb.203:
	s_lshl_b32 s0, s50, 3
	s_add_u32 s0, s34, s0
	s_addc_u32 s1, s35, 0
	s_add_u32 s0, s0, 0xc4
	s_addc_u32 s1, s1, 0
	s_mul_i32 s2, s50, 12
	s_add_u32 s2, s34, s2
	s_addc_u32 s3, s35, 0
.LBB17_204:                             ; =>This Inner Loop Header: Depth=1
	s_load_dwordx2 s[6:7], s[2:3], 0x4
	s_load_dword s5, s[2:3], 0xc
	s_load_dwordx2 s[8:9], s[0:1], 0x0
	s_add_u32 s2, s2, 12
	s_addc_u32 s3, s3, 0
	s_waitcnt lgkmcnt(0)
	v_mul_hi_u32 v3, s7, v1
	s_add_u32 s0, s0, 8
	s_addc_u32 s1, s1, 0
	s_add_i32 s4, s4, -1
	v_add_u32_e32 v3, v1, v3
	v_lshrrev_b32_e32 v5, s5, v3
	v_mul_lo_u32 v3, v5, s6
	s_cmp_lg_u32 s4, 0
	v_sub_u32_e32 v3, v1, v3
	v_mad_u64_u32 v[0:1], s[6:7], v3, s8, v[0:1]
	v_mad_u64_u32 v[2:3], s[6:7], v3, s9, v[2:3]
	v_mov_b32_e32 v1, v5
	s_cbranch_scc1 .LBB17_204
.LBB17_205:
	s_cbranch_execnz .LBB17_208
.LBB17_206:
	s_waitcnt lgkmcnt(0)
	v_mul_hi_u32 v0, s25, v4
	s_andn2_b64 vcc, exec, s[42:43]
	v_add_u32_e32 v0, v4, v0
	v_lshrrev_b32_e32 v1, s26, v0
	v_mul_lo_u32 v0, v1, s24
	v_sub_u32_e32 v2, v4, v0
	v_mul_lo_u32 v0, v2, s20
	v_mul_lo_u32 v2, v2, s21
	s_cbranch_vccnz .LBB17_208
; %bb.207:
	v_mul_hi_u32 v3, s40, v1
	v_add_u32_e32 v3, v1, v3
	v_lshrrev_b32_e32 v3, s41, v3
	v_mul_lo_u32 v3, v3, s27
	v_sub_u32_e32 v3, v1, v3
	v_mad_u64_u32 v[0:1], s[0:1], v3, s22, v[0:1]
	v_mad_u64_u32 v[2:3], s[0:1], v3, s23, v[2:3]
.LBB17_208:
	s_waitcnt lgkmcnt(0)
	global_load_dword v1, v2, s[18:19]
	s_mov_b32 s0, 0x41000000
                                        ; implicit-def: $vgpr2
	s_waitcnt vmcnt(0)
	v_cmp_le_f32_e64 s[0:1], |v1|, s0
	s_and_saveexec_b64 s[2:3], s[0:1]
	s_xor_b64 s[2:3], exec, s[2:3]
	s_cbranch_execz .LBB17_214
; %bb.209:
	v_fma_f32 v2, |v1|, 0.5, -2.0
	v_mov_b32_e32 v3, 0xa3c2be86
	v_fmac_f32_e32 v3, 0x224cf950, v2
	v_mov_b32_e32 v4, 0xa24cf950
	v_fmac_f32_e32 v4, v2, v3
	v_add_f32_e32 v4, 0x25331f1f, v4
	v_fma_f32 v3, v2, v4, -v3
	v_add_f32_e32 v3, 0xa69f5554, v3
	v_fma_f32 v4, v2, v3, -v4
	;; [unrolled: 2-line block ×25, first 2 shown]
	v_add_f32_e32 v3, 0xbe34a688, v3
	s_mov_b32 s0, 0x3fb8aa3b
	v_fma_f32 v2, v2, v3, -v4
	v_mul_f32_e64 v3, |v1|, s0
	v_rndne_f32_e32 v5, v3
	v_sub_f32_e32 v6, v3, v5
	v_fma_f32 v3, |v1|, s0, -v3
	s_mov_b32 s0, 0x32a5705f
	v_fma_f32 v3, |v1|, s0, v3
	v_add_f32_e32 v3, v6, v3
	v_exp_f32_e32 v6, v3
	v_cvt_i32_f32_e32 v5, v5
	v_add_f32_e32 v2, 0x3e81531c, v2
	v_sub_f32_e32 v2, v2, v4
	v_mul_f32_e32 v2, 0.5, v2
	s_mov_b32 s0, 0xc2ce8ed0
	v_mul_f32_e64 v3, |v1|, v2
	v_ldexp_f32 v2, v6, v5
	v_cmp_nlt_f32_e64 s[0:1], |v1|, s0
	v_cndmask_b32_e64 v2, 0, v2, s[0:1]
	s_mov_b32 s0, 0x42b17218
	v_mov_b32_e32 v4, 0x7f800000
	v_cmp_ngt_f32_e64 s[0:1], |v1|, s0
	v_cmp_ngt_f32_e32 vcc, 0, v1
	v_cndmask_b32_e64 v1, v4, v2, s[0:1]
                                        ; implicit-def: $vgpr2
	s_and_saveexec_b64 s[0:1], vcc
	s_xor_b64 s[0:1], exec, s[0:1]
; %bb.210:
	v_mul_f32_e32 v2, v1, v3
                                        ; implicit-def: $vgpr1
                                        ; implicit-def: $vgpr3
; %bb.211:
	s_andn2_saveexec_b64 s[0:1], s[0:1]
; %bb.212:
	v_mul_f32_e64 v2, v3, -v1
; %bb.213:
	s_or_b64 exec, exec, s[0:1]
                                        ; implicit-def: $vgpr1
.LBB17_214:
	s_andn2_saveexec_b64 s[2:3], s[2:3]
	s_cbranch_execz .LBB17_220
; %bb.215:
	v_and_b32_e32 v2, 0x7fffffff, v1
	s_mov_b32 s4, 0x42000000
	v_div_scale_f32 v3, s[0:1], v2, v2, s4
	v_div_scale_f32 v2, vcc, s4, v2, s4
	s_mov_b32 s5, 0x3fb8aa3b
	s_mov_b32 s6, 0x32a5705f
	v_mov_b32_e32 v4, 0x22a2dc57
	v_mov_b32_e32 v6, 0xa30aab6e
	v_cmp_ngt_f32_e64 s[0:1], 0, v1
	v_rcp_f32_e32 v5, v3
	v_fma_f32 v7, -v3, v5, 1.0
	v_fmac_f32_e32 v5, v7, v5
	v_mul_f32_e32 v7, v2, v5
	v_fma_f32 v8, -v3, v7, v2
	v_fmac_f32_e32 v7, v8, v5
	v_fma_f32 v2, -v3, v7, v2
	v_div_fmas_f32 v2, v2, v5, v7
	v_mul_f32_e64 v3, |v1|, s5
	v_rndne_f32_e32 v5, v3
	v_fma_f32 v7, |v1|, s5, -v3
	v_sub_f32_e32 v3, v3, v5
	v_fma_f32 v7, |v1|, s6, v7
	v_add_f32_e32 v3, v3, v7
	v_cvt_i32_f32_e32 v5, v5
	v_exp_f32_e32 v3, v3
	s_mov_b32 s5, 0xc2ce8ed0
	s_mov_b32 s6, 0x42b17218
	v_cmp_nlt_f32_e64 vcc, |v1|, s5
	v_ldexp_f32 v3, v3, v5
	v_mov_b32_e32 v7, 0x7f800000
	v_cndmask_b32_e32 v3, 0, v3, vcc
	v_cmp_ngt_f32_e64 vcc, |v1|, s6
	v_div_fixup_f32 v2, v2, |v1|, s4
	v_add_f32_e32 v2, -2.0, v2
	v_fmac_f32_e32 v4, 0x230aab6e, v2
	v_fmac_f32_e32 v6, v2, v4
	v_add_f32_e32 v5, 0xa456751e, v6
	v_fma_f32 v4, v2, v5, -v4
	v_add_f32_e32 v4, 0xa4140365, v4
	v_fma_f32 v5, v2, v4, -v5
	;; [unrolled: 2-line block ×22, first 2 shown]
	v_add_f32_e32 v2, 0x3f4750c6, v2
	v_cndmask_b32_e32 v3, v7, v3, vcc
	v_sub_f32_e32 v4, v2, v5
                                        ; implicit-def: $vgpr2
	s_and_saveexec_b64 s[4:5], s[0:1]
	s_xor_b64 s[4:5], exec, s[4:5]
	s_cbranch_execz .LBB17_217
; %bb.216:
	s_mov_b32 s0, 0xf800000
	s_mov_b32 s1, 0x4f800000
	v_mul_f32_e64 v2, |v1|, s1
	v_cmp_lt_f32_e64 vcc, |v1|, s0
	v_cndmask_b32_e64 v1, |v1|, v2, vcc
	v_sqrt_f32_e32 v2, v1
	v_mul_f32_e32 v4, 0.5, v4
	v_mul_f32_e32 v3, v3, v4
	v_add_u32_e32 v4, -1, v2
	v_fma_f32 v5, -v4, v2, v1
	v_cmp_ge_f32_e64 s[0:1], 0, v5
	v_add_u32_e32 v5, 1, v2
	v_cndmask_b32_e64 v4, v2, v4, s[0:1]
	v_fma_f32 v2, -v5, v2, v1
	v_cmp_lt_f32_e64 s[0:1], 0, v2
	v_cndmask_b32_e64 v2, v4, v5, s[0:1]
	v_mul_f32_e32 v4, 0x37800000, v2
	v_cndmask_b32_e32 v2, v2, v4, vcc
	v_mov_b32_e32 v4, 0x260
	v_cmp_class_f32_e32 vcc, v1, v4
	v_cndmask_b32_e32 v1, v2, v1, vcc
	v_div_scale_f32 v2, s[0:1], v1, v1, v3
	v_div_scale_f32 v4, vcc, v3, v1, v3
	v_rcp_f32_e32 v5, v2
	v_fma_f32 v6, -v2, v5, 1.0
	v_fmac_f32_e32 v5, v6, v5
	v_mul_f32_e32 v6, v4, v5
	v_fma_f32 v7, -v2, v6, v4
	v_fmac_f32_e32 v6, v7, v5
	v_fma_f32 v2, -v2, v6, v4
	v_div_fmas_f32 v2, v2, v5, v6
                                        ; implicit-def: $vgpr4
	v_div_fixup_f32 v2, v2, v1, v3
                                        ; implicit-def: $vgpr1
                                        ; implicit-def: $vgpr3
.LBB17_217:
	s_andn2_saveexec_b64 s[4:5], s[4:5]
	s_cbranch_execz .LBB17_219
; %bb.218:
	s_mov_b32 s0, 0xf800000
	s_mov_b32 s1, 0x4f800000
	v_mul_f32_e64 v2, |v1|, s1
	v_cmp_lt_f32_e64 vcc, |v1|, s0
	v_cndmask_b32_e64 v1, |v1|, v2, vcc
	v_sqrt_f32_e32 v2, v1
	v_add_u32_e32 v5, -1, v2
	v_fma_f32 v6, -v5, v2, v1
	v_cmp_ge_f32_e64 s[0:1], 0, v6
	v_add_u32_e32 v6, 1, v2
	v_cndmask_b32_e64 v5, v2, v5, s[0:1]
	v_fma_f32 v2, -v6, v2, v1
	v_cmp_lt_f32_e64 s[0:1], 0, v2
	v_cndmask_b32_e64 v2, v5, v6, s[0:1]
	v_mul_f32_e32 v5, 0x37800000, v2
	v_cndmask_b32_e32 v2, v2, v5, vcc
	v_mov_b32_e32 v5, 0x260
	v_cmp_class_f32_e32 vcc, v1, v5
	v_cndmask_b32_e32 v1, v2, v1, vcc
	v_mul_f32_e32 v2, -0.5, v4
	v_mul_f32_e32 v2, v3, v2
	v_div_scale_f32 v3, s[0:1], v1, v1, v2
	v_div_scale_f32 v4, vcc, v2, v1, v2
	v_rcp_f32_e32 v5, v3
	v_fma_f32 v6, -v3, v5, 1.0
	v_fmac_f32_e32 v5, v6, v5
	v_mul_f32_e32 v6, v4, v5
	v_fma_f32 v7, -v3, v6, v4
	v_fmac_f32_e32 v6, v7, v5
	v_fma_f32 v3, -v3, v6, v4
	v_div_fmas_f32 v3, v3, v5, v6
	v_div_fixup_f32 v2, v3, v1, v2
.LBB17_219:
	s_or_b64 exec, exec, s[4:5]
.LBB17_220:
	s_or_b64 exec, exec, s[2:3]
	global_store_dword v0, v2, s[16:17]
	s_or_b64 exec, exec, s[48:49]
                                        ; implicit-def: $vgpr13
                                        ; implicit-def: $vgpr4
	s_andn2_saveexec_b64 s[0:1], s[38:39]
	s_cbranch_execz .LBB17_173
	s_branch .LBB17_8
	.section	.rodata,"a",@progbits
	.p2align	6, 0x0
	.amdhsa_kernel _ZN2at6native32elementwise_kernel_manual_unrollILi128ELi4EZNS0_22gpu_kernel_impl_nocastIZZZNS0_12_GLOBAL__N_130modified_bessel_i1_kernel_cudaERNS_18TensorIteratorBaseEENKUlvE_clEvENKUlvE0_clEvEUlfE_EEvS5_RKT_EUlibE_EEviT1_
		.amdhsa_group_segment_fixed_size 0
		.amdhsa_private_segment_fixed_size 0
		.amdhsa_kernarg_size 360
		.amdhsa_user_sgpr_count 6
		.amdhsa_user_sgpr_private_segment_buffer 1
		.amdhsa_user_sgpr_dispatch_ptr 0
		.amdhsa_user_sgpr_queue_ptr 0
		.amdhsa_user_sgpr_kernarg_segment_ptr 1
		.amdhsa_user_sgpr_dispatch_id 0
		.amdhsa_user_sgpr_flat_scratch_init 0
		.amdhsa_user_sgpr_private_segment_size 0
		.amdhsa_uses_dynamic_stack 0
		.amdhsa_system_sgpr_private_segment_wavefront_offset 0
		.amdhsa_system_sgpr_workgroup_id_x 1
		.amdhsa_system_sgpr_workgroup_id_y 0
		.amdhsa_system_sgpr_workgroup_id_z 0
		.amdhsa_system_sgpr_workgroup_info 0
		.amdhsa_system_vgpr_workitem_id 0
		.amdhsa_next_free_vgpr 18
		.amdhsa_next_free_sgpr 60
		.amdhsa_reserve_vcc 1
		.amdhsa_reserve_flat_scratch 0
		.amdhsa_float_round_mode_32 0
		.amdhsa_float_round_mode_16_64 0
		.amdhsa_float_denorm_mode_32 3
		.amdhsa_float_denorm_mode_16_64 3
		.amdhsa_dx10_clamp 1
		.amdhsa_ieee_mode 1
		.amdhsa_fp16_overflow 0
		.amdhsa_exception_fp_ieee_invalid_op 0
		.amdhsa_exception_fp_denorm_src 0
		.amdhsa_exception_fp_ieee_div_zero 0
		.amdhsa_exception_fp_ieee_overflow 0
		.amdhsa_exception_fp_ieee_underflow 0
		.amdhsa_exception_fp_ieee_inexact 0
		.amdhsa_exception_int_div_zero 0
	.end_amdhsa_kernel
	.section	.text._ZN2at6native32elementwise_kernel_manual_unrollILi128ELi4EZNS0_22gpu_kernel_impl_nocastIZZZNS0_12_GLOBAL__N_130modified_bessel_i1_kernel_cudaERNS_18TensorIteratorBaseEENKUlvE_clEvENKUlvE0_clEvEUlfE_EEvS5_RKT_EUlibE_EEviT1_,"axG",@progbits,_ZN2at6native32elementwise_kernel_manual_unrollILi128ELi4EZNS0_22gpu_kernel_impl_nocastIZZZNS0_12_GLOBAL__N_130modified_bessel_i1_kernel_cudaERNS_18TensorIteratorBaseEENKUlvE_clEvENKUlvE0_clEvEUlfE_EEvS5_RKT_EUlibE_EEviT1_,comdat
.Lfunc_end17:
	.size	_ZN2at6native32elementwise_kernel_manual_unrollILi128ELi4EZNS0_22gpu_kernel_impl_nocastIZZZNS0_12_GLOBAL__N_130modified_bessel_i1_kernel_cudaERNS_18TensorIteratorBaseEENKUlvE_clEvENKUlvE0_clEvEUlfE_EEvS5_RKT_EUlibE_EEviT1_, .Lfunc_end17-_ZN2at6native32elementwise_kernel_manual_unrollILi128ELi4EZNS0_22gpu_kernel_impl_nocastIZZZNS0_12_GLOBAL__N_130modified_bessel_i1_kernel_cudaERNS_18TensorIteratorBaseEENKUlvE_clEvENKUlvE0_clEvEUlfE_EEvS5_RKT_EUlibE_EEviT1_
                                        ; -- End function
	.set _ZN2at6native32elementwise_kernel_manual_unrollILi128ELi4EZNS0_22gpu_kernel_impl_nocastIZZZNS0_12_GLOBAL__N_130modified_bessel_i1_kernel_cudaERNS_18TensorIteratorBaseEENKUlvE_clEvENKUlvE0_clEvEUlfE_EEvS5_RKT_EUlibE_EEviT1_.num_vgpr, 18
	.set _ZN2at6native32elementwise_kernel_manual_unrollILi128ELi4EZNS0_22gpu_kernel_impl_nocastIZZZNS0_12_GLOBAL__N_130modified_bessel_i1_kernel_cudaERNS_18TensorIteratorBaseEENKUlvE_clEvENKUlvE0_clEvEUlfE_EEvS5_RKT_EUlibE_EEviT1_.num_agpr, 0
	.set _ZN2at6native32elementwise_kernel_manual_unrollILi128ELi4EZNS0_22gpu_kernel_impl_nocastIZZZNS0_12_GLOBAL__N_130modified_bessel_i1_kernel_cudaERNS_18TensorIteratorBaseEENKUlvE_clEvENKUlvE0_clEvEUlfE_EEvS5_RKT_EUlibE_EEviT1_.numbered_sgpr, 60
	.set _ZN2at6native32elementwise_kernel_manual_unrollILi128ELi4EZNS0_22gpu_kernel_impl_nocastIZZZNS0_12_GLOBAL__N_130modified_bessel_i1_kernel_cudaERNS_18TensorIteratorBaseEENKUlvE_clEvENKUlvE0_clEvEUlfE_EEvS5_RKT_EUlibE_EEviT1_.num_named_barrier, 0
	.set _ZN2at6native32elementwise_kernel_manual_unrollILi128ELi4EZNS0_22gpu_kernel_impl_nocastIZZZNS0_12_GLOBAL__N_130modified_bessel_i1_kernel_cudaERNS_18TensorIteratorBaseEENKUlvE_clEvENKUlvE0_clEvEUlfE_EEvS5_RKT_EUlibE_EEviT1_.private_seg_size, 0
	.set _ZN2at6native32elementwise_kernel_manual_unrollILi128ELi4EZNS0_22gpu_kernel_impl_nocastIZZZNS0_12_GLOBAL__N_130modified_bessel_i1_kernel_cudaERNS_18TensorIteratorBaseEENKUlvE_clEvENKUlvE0_clEvEUlfE_EEvS5_RKT_EUlibE_EEviT1_.uses_vcc, 1
	.set _ZN2at6native32elementwise_kernel_manual_unrollILi128ELi4EZNS0_22gpu_kernel_impl_nocastIZZZNS0_12_GLOBAL__N_130modified_bessel_i1_kernel_cudaERNS_18TensorIteratorBaseEENKUlvE_clEvENKUlvE0_clEvEUlfE_EEvS5_RKT_EUlibE_EEviT1_.uses_flat_scratch, 0
	.set _ZN2at6native32elementwise_kernel_manual_unrollILi128ELi4EZNS0_22gpu_kernel_impl_nocastIZZZNS0_12_GLOBAL__N_130modified_bessel_i1_kernel_cudaERNS_18TensorIteratorBaseEENKUlvE_clEvENKUlvE0_clEvEUlfE_EEvS5_RKT_EUlibE_EEviT1_.has_dyn_sized_stack, 0
	.set _ZN2at6native32elementwise_kernel_manual_unrollILi128ELi4EZNS0_22gpu_kernel_impl_nocastIZZZNS0_12_GLOBAL__N_130modified_bessel_i1_kernel_cudaERNS_18TensorIteratorBaseEENKUlvE_clEvENKUlvE0_clEvEUlfE_EEvS5_RKT_EUlibE_EEviT1_.has_recursion, 0
	.set _ZN2at6native32elementwise_kernel_manual_unrollILi128ELi4EZNS0_22gpu_kernel_impl_nocastIZZZNS0_12_GLOBAL__N_130modified_bessel_i1_kernel_cudaERNS_18TensorIteratorBaseEENKUlvE_clEvENKUlvE0_clEvEUlfE_EEvS5_RKT_EUlibE_EEviT1_.has_indirect_call, 0
	.section	.AMDGPU.csdata,"",@progbits
; Kernel info:
; codeLenInByte = 19440
; TotalNumSgprs: 64
; NumVgprs: 18
; ScratchSize: 0
; MemoryBound: 0
; FloatMode: 240
; IeeeMode: 1
; LDSByteSize: 0 bytes/workgroup (compile time only)
; SGPRBlocks: 7
; VGPRBlocks: 4
; NumSGPRsForWavesPerEU: 64
; NumVGPRsForWavesPerEU: 18
; Occupancy: 10
; WaveLimiterHint : 1
; COMPUTE_PGM_RSRC2:SCRATCH_EN: 0
; COMPUTE_PGM_RSRC2:USER_SGPR: 6
; COMPUTE_PGM_RSRC2:TRAP_HANDLER: 0
; COMPUTE_PGM_RSRC2:TGID_X_EN: 1
; COMPUTE_PGM_RSRC2:TGID_Y_EN: 0
; COMPUTE_PGM_RSRC2:TGID_Z_EN: 0
; COMPUTE_PGM_RSRC2:TIDIG_COMP_CNT: 0
	.section	.text._ZN2at6native32elementwise_kernel_manual_unrollILi128ELi4EZNS0_15gpu_kernel_implIZZZNS0_12_GLOBAL__N_130modified_bessel_i1_kernel_cudaERNS_18TensorIteratorBaseEENKUlvE_clEvENKUlvE0_clEvEUlfE_EEvS5_RKT_EUlibE_EEviT1_,"axG",@progbits,_ZN2at6native32elementwise_kernel_manual_unrollILi128ELi4EZNS0_15gpu_kernel_implIZZZNS0_12_GLOBAL__N_130modified_bessel_i1_kernel_cudaERNS_18TensorIteratorBaseEENKUlvE_clEvENKUlvE0_clEvEUlfE_EEvS5_RKT_EUlibE_EEviT1_,comdat
	.globl	_ZN2at6native32elementwise_kernel_manual_unrollILi128ELi4EZNS0_15gpu_kernel_implIZZZNS0_12_GLOBAL__N_130modified_bessel_i1_kernel_cudaERNS_18TensorIteratorBaseEENKUlvE_clEvENKUlvE0_clEvEUlfE_EEvS5_RKT_EUlibE_EEviT1_ ; -- Begin function _ZN2at6native32elementwise_kernel_manual_unrollILi128ELi4EZNS0_15gpu_kernel_implIZZZNS0_12_GLOBAL__N_130modified_bessel_i1_kernel_cudaERNS_18TensorIteratorBaseEENKUlvE_clEvENKUlvE0_clEvEUlfE_EEvS5_RKT_EUlibE_EEviT1_
	.p2align	8
	.type	_ZN2at6native32elementwise_kernel_manual_unrollILi128ELi4EZNS0_15gpu_kernel_implIZZZNS0_12_GLOBAL__N_130modified_bessel_i1_kernel_cudaERNS_18TensorIteratorBaseEENKUlvE_clEvENKUlvE0_clEvEUlfE_EEvS5_RKT_EUlibE_EEviT1_,@function
_ZN2at6native32elementwise_kernel_manual_unrollILi128ELi4EZNS0_15gpu_kernel_implIZZZNS0_12_GLOBAL__N_130modified_bessel_i1_kernel_cudaERNS_18TensorIteratorBaseEENKUlvE_clEvENKUlvE0_clEvEUlfE_EEvS5_RKT_EUlibE_EEviT1_: ; @_ZN2at6native32elementwise_kernel_manual_unrollILi128ELi4EZNS0_15gpu_kernel_implIZZZNS0_12_GLOBAL__N_130modified_bessel_i1_kernel_cudaERNS_18TensorIteratorBaseEENKUlvE_clEvENKUlvE0_clEvEUlfE_EEvS5_RKT_EUlibE_EEviT1_
; %bb.0:
	v_mov_b32_e32 v1, 0
	global_load_ushort v1, v1, s[4:5] offset:33
	s_load_dwordx4 s[8:11], s[4:5], 0x8
	s_load_dwordx2 s[2:3], s[4:5], 0x18
	s_load_dword s38, s[4:5], 0x0
	v_lshl_or_b32 v7, s6, 9, v0
	v_or_b32_e32 v0, 0x180, v7
	s_mov_b64 s[12:13], 0
	s_mov_b64 s[6:7], 0
	s_waitcnt lgkmcnt(0)
	v_cmp_le_i32_e32 vcc, s38, v0
	s_waitcnt vmcnt(0)
	v_readfirstlane_b32 s33, v1
	s_and_b32 s0, 0xffff, s33
	s_lshr_b32 s42, s0, 8
	s_and_saveexec_b64 s[0:1], vcc
	s_xor_b64 s[4:5], exec, s[0:1]
	s_cbranch_execz .LBB18_1075
; %bb.1:
	v_cmp_gt_i32_e32 vcc, s38, v7
	s_mov_b64 s[18:19], -1
	s_mov_b64 s[20:21], 0
	s_mov_b64 s[14:15], 0
	s_and_saveexec_b64 s[16:17], vcc
	s_cbranch_execz .LBB18_264
; %bb.2:
	v_mul_lo_u32 v0, v7, s3
	v_mov_b32_e32 v1, s11
	s_and_b32 s22, 0xffff, s42
	s_cmp_lt_i32 s22, 11
	v_ashrrev_i32_e32 v2, 31, v0
	v_add_co_u32_e32 v0, vcc, s10, v0
	v_addc_co_u32_e32 v1, vcc, v1, v2, vcc
	s_cbranch_scc1 .LBB18_9
; %bb.3:
	s_cmp_gt_i32 s22, 25
	s_cbranch_scc0 .LBB18_30
; %bb.4:
	s_cmp_gt_i32 s22, 28
	s_cbranch_scc0 .LBB18_34
	;; [unrolled: 3-line block ×4, first 2 shown]
; %bb.7:
	s_cmp_eq_u32 s22, 46
	s_cbranch_scc0 .LBB18_40
; %bb.8:
	global_load_dword v2, v[0:1], off
	s_mov_b64 s[0:1], -1
	s_waitcnt vmcnt(0)
	v_lshlrev_b32_e32 v2, 16, v2
	s_branch .LBB18_42
.LBB18_9:
                                        ; implicit-def: $vgpr2
	s_mov_b64 s[0:1], 0
	s_cbranch_execnz .LBB18_215
.LBB18_10:
	s_andn2_b64 vcc, exec, s[0:1]
	s_cbranch_vccnz .LBB18_262
.LBB18_11:
	s_mov_b32 s0, 0x41000000
	s_waitcnt vmcnt(0)
	v_cmp_le_f32_e64 s[0:1], |v2|, s0
                                        ; implicit-def: $vgpr0
	s_and_saveexec_b64 s[6:7], s[0:1]
	s_xor_b64 s[6:7], exec, s[6:7]
	s_cbranch_execz .LBB18_17
; %bb.12:
	v_fma_f32 v0, |v2|, 0.5, -2.0
	v_mov_b32_e32 v1, 0xa3c2be86
	v_fmac_f32_e32 v1, 0x224cf950, v0
	v_mov_b32_e32 v3, 0xa24cf950
	v_fmac_f32_e32 v3, v0, v1
	v_add_f32_e32 v3, 0x25331f1f, v3
	v_fma_f32 v1, v0, v3, -v1
	v_add_f32_e32 v1, 0xa69f5554, v1
	v_fma_f32 v3, v0, v1, -v3
	;; [unrolled: 2-line block ×25, first 2 shown]
	v_add_f32_e32 v1, 0xbe34a688, v1
	s_mov_b32 s0, 0x3fb8aa3b
	v_fma_f32 v0, v0, v1, -v3
	v_mul_f32_e64 v1, |v2|, s0
	v_rndne_f32_e32 v4, v1
	v_sub_f32_e32 v5, v1, v4
	v_fma_f32 v1, |v2|, s0, -v1
	s_mov_b32 s0, 0x32a5705f
	v_fma_f32 v1, |v2|, s0, v1
	v_add_f32_e32 v1, v5, v1
	v_exp_f32_e32 v5, v1
	v_cvt_i32_f32_e32 v4, v4
	v_add_f32_e32 v0, 0x3e81531c, v0
	v_sub_f32_e32 v0, v0, v3
	v_mul_f32_e32 v0, 0.5, v0
	s_mov_b32 s0, 0xc2ce8ed0
	v_mul_f32_e64 v1, |v2|, v0
	v_ldexp_f32 v0, v5, v4
	v_cmp_nlt_f32_e64 s[0:1], |v2|, s0
	v_cndmask_b32_e64 v0, 0, v0, s[0:1]
	s_mov_b32 s0, 0x42b17218
	v_mov_b32_e32 v3, 0x7f800000
	v_cmp_ngt_f32_e64 s[0:1], |v2|, s0
	v_cmp_ngt_f32_e32 vcc, 0, v2
	v_cndmask_b32_e64 v2, v3, v0, s[0:1]
                                        ; implicit-def: $vgpr0
	s_and_saveexec_b64 s[0:1], vcc
	s_xor_b64 s[0:1], exec, s[0:1]
; %bb.13:
	v_mul_f32_e32 v0, v2, v1
                                        ; implicit-def: $vgpr2
                                        ; implicit-def: $vgpr1
; %bb.14:
	s_andn2_saveexec_b64 s[0:1], s[0:1]
; %bb.15:
	v_mul_f32_e64 v0, v1, -v2
; %bb.16:
	s_or_b64 exec, exec, s[0:1]
                                        ; implicit-def: $vgpr2
.LBB18_17:
	s_andn2_saveexec_b64 s[6:7], s[6:7]
	s_cbranch_execz .LBB18_23
; %bb.18:
	v_and_b32_e32 v0, 0x7fffffff, v2
	s_mov_b32 s18, 0x42000000
	v_div_scale_f32 v1, s[0:1], v0, v0, s18
	v_div_scale_f32 v0, vcc, s18, v0, s18
	s_mov_b32 s19, 0x3fb8aa3b
	s_mov_b32 s22, 0x32a5705f
	v_mov_b32_e32 v3, 0x22a2dc57
	v_mov_b32_e32 v5, 0xa30aab6e
	v_cmp_ngt_f32_e64 s[0:1], 0, v2
	v_rcp_f32_e32 v4, v1
	v_fma_f32 v6, -v1, v4, 1.0
	v_fmac_f32_e32 v4, v6, v4
	v_mul_f32_e32 v6, v0, v4
	v_fma_f32 v8, -v1, v6, v0
	v_fmac_f32_e32 v6, v8, v4
	v_fma_f32 v0, -v1, v6, v0
	v_div_fmas_f32 v0, v0, v4, v6
	v_mul_f32_e64 v1, |v2|, s19
	v_rndne_f32_e32 v4, v1
	v_fma_f32 v6, |v2|, s19, -v1
	v_sub_f32_e32 v1, v1, v4
	v_fma_f32 v6, |v2|, s22, v6
	v_add_f32_e32 v1, v1, v6
	v_cvt_i32_f32_e32 v4, v4
	v_exp_f32_e32 v1, v1
	s_mov_b32 s19, 0xc2ce8ed0
	s_mov_b32 s22, 0x42b17218
	v_cmp_nlt_f32_e64 vcc, |v2|, s19
	v_ldexp_f32 v1, v1, v4
	v_mov_b32_e32 v6, 0x7f800000
	v_cndmask_b32_e32 v1, 0, v1, vcc
	v_cmp_ngt_f32_e64 vcc, |v2|, s22
	v_div_fixup_f32 v0, v0, |v2|, s18
	v_add_f32_e32 v0, -2.0, v0
	v_fmac_f32_e32 v3, 0x230aab6e, v0
	v_fmac_f32_e32 v5, v0, v3
	v_add_f32_e32 v4, 0xa456751e, v5
	v_fma_f32 v3, v0, v4, -v3
	v_add_f32_e32 v3, 0xa4140365, v3
	v_fma_f32 v4, v0, v3, -v4
	v_add_f32_e32 v4, 0x25aac8b0, v4
	v_fma_f32 v3, v0, v4, -v3
	v_add_f32_e32 v3, 0x25beb473, v3
	v_fma_f32 v4, v0, v3, -v4
	v_add_f32_e32 v4, 0xa7077e6c, v4
	v_fma_f32 v3, v0, v4, -v3
	v_add_f32_e32 v3, 0xa7896da9, v3
	v_fma_f32 v4, v0, v3, -v4
	v_add_f32_e32 v4, 0x283bb70c, v4
	v_fma_f32 v3, v0, v4, -v3
	v_add_f32_e32 v3, 0x294069e1, v3
	v_fma_f32 v4, v0, v3, -v4
	v_add_f32_e32 v4, 0xa8bd4a41, v4
	v_fma_f32 v3, v0, v4, -v3
	v_add_f32_e32 v3, 0xaae5e22c, v3
	v_fma_f32 v4, v0, v3, -v4
	v_add_f32_e32 v4, 0xab4a9f08, v4
	v_fma_f32 v3, v0, v4, -v3
	v_add_f32_e32 v3, 0x2c0f3ea0, v3
	v_fma_f32 v4, v0, v3, -v4
	v_add_f32_e32 v4, 0x2d7880fb, v4
	v_fma_f32 v3, v0, v4, -v3
	v_add_f32_e32 v3, 0x2e0f0d10, v3
	v_fma_f32 v4, v0, v3, -v4
	v_add_f32_e32 v4, 0xada6e7cf, v4
	v_fma_f32 v3, v0, v4, -v3
	v_add_f32_e32 v3, 0xb019a653, v3
	v_fma_f32 v4, v0, v3, -v4
	v_add_f32_e32 v4, 0xb183c85d, v4
	v_fma_f32 v3, v0, v4, -v3
	v_add_f32_e32 v3, 0xb2e20a9d, v3
	v_fma_f32 v4, v0, v3, -v4
	v_add_f32_e32 v4, 0xb486dfe9, v4
	v_fma_f32 v3, v0, v4, -v3
	v_add_f32_e32 v3, 0xb68246fa, v3
	v_fma_f32 v4, v0, v3, -v4
	v_add_f32_e32 v4, 0xb8e7ebfc, v4
	v_fma_f32 v3, v0, v4, -v3
	v_add_f32_e32 v3, 0xbc1fed03, v3
	v_fma_f32 v0, v0, v3, -v4
	v_add_f32_e32 v0, 0x3f4750c6, v0
	v_cndmask_b32_e32 v1, v6, v1, vcc
	v_sub_f32_e32 v3, v0, v4
                                        ; implicit-def: $vgpr0
	s_and_saveexec_b64 s[18:19], s[0:1]
	s_xor_b64 s[18:19], exec, s[18:19]
	s_cbranch_execz .LBB18_20
; %bb.19:
	s_mov_b32 s0, 0xf800000
	s_mov_b32 s1, 0x4f800000
	v_mul_f32_e64 v0, |v2|, s1
	v_cmp_lt_f32_e64 vcc, |v2|, s0
	v_cndmask_b32_e64 v0, |v2|, v0, vcc
	v_sqrt_f32_e32 v2, v0
	v_mul_f32_e32 v3, 0.5, v3
	v_mul_f32_e32 v1, v1, v3
	v_add_u32_e32 v3, -1, v2
	v_fma_f32 v4, -v3, v2, v0
	v_cmp_ge_f32_e64 s[0:1], 0, v4
	v_add_u32_e32 v4, 1, v2
	v_cndmask_b32_e64 v3, v2, v3, s[0:1]
	v_fma_f32 v2, -v4, v2, v0
	v_cmp_lt_f32_e64 s[0:1], 0, v2
	v_cndmask_b32_e64 v2, v3, v4, s[0:1]
	v_mul_f32_e32 v3, 0x37800000, v2
	v_cndmask_b32_e32 v2, v2, v3, vcc
	v_mov_b32_e32 v3, 0x260
	v_cmp_class_f32_e32 vcc, v0, v3
	v_cndmask_b32_e32 v0, v2, v0, vcc
	v_div_scale_f32 v2, s[0:1], v0, v0, v1
	v_div_scale_f32 v3, vcc, v1, v0, v1
	v_rcp_f32_e32 v4, v2
	v_fma_f32 v5, -v2, v4, 1.0
	v_fmac_f32_e32 v4, v5, v4
	v_mul_f32_e32 v5, v3, v4
	v_fma_f32 v6, -v2, v5, v3
	v_fmac_f32_e32 v5, v6, v4
	v_fma_f32 v2, -v2, v5, v3
	v_div_fmas_f32 v2, v2, v4, v5
                                        ; implicit-def: $vgpr3
	v_div_fixup_f32 v0, v2, v0, v1
                                        ; implicit-def: $vgpr2
                                        ; implicit-def: $vgpr1
.LBB18_20:
	s_andn2_saveexec_b64 s[18:19], s[18:19]
	s_cbranch_execz .LBB18_22
; %bb.21:
	s_mov_b32 s0, 0xf800000
	s_mov_b32 s1, 0x4f800000
	v_mul_f32_e64 v0, |v2|, s1
	v_cmp_lt_f32_e64 vcc, |v2|, s0
	v_cndmask_b32_e64 v0, |v2|, v0, vcc
	v_sqrt_f32_e32 v2, v0
	v_add_u32_e32 v4, -1, v2
	v_fma_f32 v5, -v4, v2, v0
	v_cmp_ge_f32_e64 s[0:1], 0, v5
	v_add_u32_e32 v5, 1, v2
	v_cndmask_b32_e64 v4, v2, v4, s[0:1]
	v_fma_f32 v2, -v5, v2, v0
	v_cmp_lt_f32_e64 s[0:1], 0, v2
	v_cndmask_b32_e64 v2, v4, v5, s[0:1]
	v_mul_f32_e32 v4, 0x37800000, v2
	v_cndmask_b32_e32 v2, v2, v4, vcc
	v_mov_b32_e32 v4, 0x260
	v_cmp_class_f32_e32 vcc, v0, v4
	v_cndmask_b32_e32 v0, v2, v0, vcc
	v_mul_f32_e32 v2, -0.5, v3
	v_mul_f32_e32 v1, v1, v2
	v_div_scale_f32 v2, s[0:1], v0, v0, v1
	v_div_scale_f32 v3, vcc, v1, v0, v1
	v_rcp_f32_e32 v4, v2
	v_fma_f32 v5, -v2, v4, 1.0
	v_fmac_f32_e32 v4, v5, v4
	v_mul_f32_e32 v5, v3, v4
	v_fma_f32 v6, -v2, v5, v3
	v_fmac_f32_e32 v5, v6, v4
	v_fma_f32 v2, -v2, v5, v3
	v_div_fmas_f32 v2, v2, v4, v5
	v_div_fixup_f32 v0, v2, v0, v1
.LBB18_22:
	s_or_b64 exec, exec, s[18:19]
.LBB18_23:
	s_or_b64 exec, exec, s[6:7]
	v_mul_lo_u32 v1, v7, s2
	v_mov_b32_e32 v3, s9
	s_and_b32 s24, s33, 0xff
	s_cmp_lt_i32 s24, 11
	v_ashrrev_i32_e32 v4, 31, v1
	v_add_co_u32_e32 v2, vcc, s8, v1
	v_addc_co_u32_e32 v3, vcc, v3, v4, vcc
	s_cbranch_scc1 .LBB18_31
; %bb.24:
	s_and_b32 s25, 0xffff, s24
	s_cmp_gt_i32 s25, 25
	s_cbranch_scc0 .LBB18_35
; %bb.25:
	s_cmp_gt_i32 s25, 28
	s_cbranch_scc0 .LBB18_37
; %bb.26:
	;; [unrolled: 3-line block ×4, first 2 shown]
	s_mov_b64 s[18:19], 0
	s_mov_b64 s[0:1], -1
	s_cmp_eq_u32 s25, 46
	s_mov_b64 s[6:7], 0
	s_cbranch_scc0 .LBB18_46
; %bb.29:
	v_bfe_u32 v1, v0, 16, 1
	s_movk_i32 s0, 0x7fff
	v_add3_u32 v1, v0, v1, s0
	v_cmp_o_f32_e32 vcc, v0, v0
	v_mov_b32_e32 v4, 0x7fc0
	v_cndmask_b32_sdwa v1, v4, v1, vcc dst_sel:DWORD dst_unused:UNUSED_PAD src0_sel:DWORD src1_sel:WORD_1
	global_store_dword v[2:3], v1, off
	s_mov_b64 s[6:7], -1
	s_mov_b64 s[0:1], 0
	s_branch .LBB18_46
.LBB18_30:
	s_mov_b64 s[0:1], 0
                                        ; implicit-def: $vgpr2
	s_cbranch_execnz .LBB18_180
	s_branch .LBB18_214
.LBB18_31:
	s_mov_b64 s[0:1], 0
	s_mov_b64 s[6:7], 0
	s_cbranch_execnz .LBB18_115
.LBB18_32:
	s_andn2_b64 vcc, exec, s[6:7]
	s_cbranch_vccnz .LBB18_153
.LBB18_33:
	v_add_u32_e32 v7, 0x80, v7
	s_mov_b64 s[18:19], -1
	s_branch .LBB18_263
.LBB18_34:
	s_mov_b64 s[6:7], -1
	s_mov_b64 s[0:1], 0
                                        ; implicit-def: $vgpr2
	s_branch .LBB18_161
.LBB18_35:
	s_mov_b64 s[18:19], -1
	s_mov_b64 s[0:1], 0
	s_mov_b64 s[6:7], 0
	s_branch .LBB18_73
.LBB18_36:
	s_mov_b64 s[6:7], -1
	s_mov_b64 s[0:1], 0
                                        ; implicit-def: $vgpr2
	s_branch .LBB18_156
.LBB18_37:
	s_mov_b64 s[18:19], -1
	s_mov_b64 s[0:1], 0
	s_mov_b64 s[6:7], 0
	s_branch .LBB18_56
.LBB18_38:
	s_mov_b64 s[6:7], -1
	s_branch .LBB18_41
.LBB18_39:
	s_mov_b64 s[18:19], -1
	s_mov_b64 s[0:1], 0
	s_mov_b64 s[6:7], 0
	s_branch .LBB18_52
.LBB18_40:
	s_mov_b64 s[14:15], -1
.LBB18_41:
	s_mov_b64 s[0:1], 0
                                        ; implicit-def: $vgpr2
.LBB18_42:
	s_and_b64 vcc, exec, s[6:7]
	s_cbranch_vccz .LBB18_155
; %bb.43:
	s_cmp_eq_u32 s22, 44
	s_cbranch_scc0 .LBB18_154
; %bb.44:
	global_load_ubyte v2, v[0:1], off
	s_movk_i32 s6, 0xff
	v_mov_b32_e32 v3, 0x7f800001
	v_mov_b32_e32 v4, 0x400000
	s_mov_b64 s[0:1], -1
	s_mov_b64 s[14:15], 0
	s_waitcnt vmcnt(0)
	v_lshlrev_b32_e32 v5, 23, v2
	v_cmp_ne_u32_e32 vcc, s6, v2
	v_cndmask_b32_e32 v3, v3, v5, vcc
	v_cmp_ne_u32_e32 vcc, 0, v2
	v_cndmask_b32_e32 v2, v4, v3, vcc
	s_branch .LBB18_155
.LBB18_45:
	s_mov_b64 s[18:19], -1
	s_mov_b64 s[0:1], 0
	s_mov_b64 s[6:7], 0
.LBB18_46:
	s_and_b64 vcc, exec, s[18:19]
	s_cbranch_vccz .LBB18_51
; %bb.47:
	s_cmp_eq_u32 s25, 44
	s_mov_b64 s[0:1], -1
	s_cbranch_scc0 .LBB18_51
; %bb.48:
	v_bfe_u32 v1, v0, 23, 8
	s_movk_i32 s0, 0xff
	v_cmp_ne_u32_e32 vcc, s0, v1
	v_mov_b32_e32 v4, 0xff
	s_and_saveexec_b64 s[6:7], vcc
; %bb.49:
	s_mov_b32 s0, 0x3fffff
	v_and_b32_e32 v5, 0x400000, v0
	v_and_or_b32 v1, v0, s0, v1
	v_cmp_ne_u32_e32 vcc, 0, v5
	v_cmp_ne_u32_e64 s[0:1], 0, v1
	s_and_b64 s[0:1], vcc, s[0:1]
	v_lshrrev_b32_e32 v4, 23, v0
	v_cndmask_b32_e64 v1, 0, 1, s[0:1]
	v_add_u32_e32 v4, v4, v1
; %bb.50:
	s_or_b64 exec, exec, s[6:7]
	s_mov_b64 s[6:7], -1
	s_mov_b64 s[0:1], 0
	global_store_byte v[2:3], v4, off
.LBB18_51:
	s_mov_b64 s[18:19], 0
.LBB18_52:
	s_and_b64 vcc, exec, s[18:19]
	s_cbranch_vccz .LBB18_55
; %bb.53:
	s_cmp_eq_u32 s25, 29
	s_mov_b64 s[0:1], -1
	s_cbranch_scc0 .LBB18_55
; %bb.54:
	v_trunc_f32_e32 v1, v0
	v_mul_f32_e32 v4, 0x2f800000, v1
	v_floor_f32_e32 v4, v4
	v_fmac_f32_e32 v1, 0xcf800000, v4
	v_cvt_u32_f32_e32 v5, v4
	v_cvt_u32_f32_e32 v4, v1
	s_mov_b64 s[6:7], -1
	s_mov_b64 s[0:1], 0
	s_mov_b64 s[18:19], 0
	global_store_dwordx2 v[2:3], v[4:5], off
	s_branch .LBB18_56
.LBB18_55:
	s_mov_b64 s[18:19], 0
.LBB18_56:
	s_and_b64 vcc, exec, s[18:19]
	s_cbranch_vccz .LBB18_72
; %bb.57:
	s_cmp_lt_i32 s25, 27
	s_mov_b64 s[6:7], -1
	s_cbranch_scc1 .LBB18_63
; %bb.58:
	v_cvt_u32_f32_e32 v1, v0
	s_cmp_gt_i32 s25, 27
	s_cbranch_scc0 .LBB18_60
; %bb.59:
	s_mov_b64 s[6:7], 0
	global_store_dword v[2:3], v1, off
.LBB18_60:
	s_andn2_b64 vcc, exec, s[6:7]
	s_cbranch_vccnz .LBB18_62
; %bb.61:
	global_store_short v[2:3], v1, off
.LBB18_62:
	s_mov_b64 s[6:7], 0
.LBB18_63:
	s_andn2_b64 vcc, exec, s[6:7]
	s_cbranch_vccnz .LBB18_71
; %bb.64:
	v_and_b32_e32 v1, 0x7fffffff, v0
	s_mov_b32 s6, 0x43800000
	v_cmp_gt_u32_e32 vcc, s6, v1
	v_mov_b32_e32 v4, 0x80
	s_and_saveexec_b64 s[6:7], vcc
	s_cbranch_execz .LBB18_70
; %bb.65:
	s_mov_b32 s18, 0x3bffffff
	v_cmp_lt_u32_e32 vcc, s18, v1
	s_mov_b64 s[18:19], 0
                                        ; implicit-def: $vgpr1
	s_and_saveexec_b64 s[22:23], vcc
	s_xor_b64 s[22:23], exec, s[22:23]
	s_cbranch_execz .LBB18_303
; %bb.66:
	v_bfe_u32 v1, v0, 20, 1
	s_mov_b32 s26, 0x487ffff
	v_add3_u32 v1, v0, v1, s26
	s_mov_b64 s[18:19], exec
	v_lshrrev_b32_e32 v1, 20, v1
	s_andn2_saveexec_b64 s[22:23], s[22:23]
	s_cbranch_execnz .LBB18_304
.LBB18_67:
	s_or_b64 exec, exec, s[22:23]
	v_mov_b32_e32 v4, 0
	s_and_saveexec_b64 s[22:23], s[18:19]
.LBB18_68:
	v_lshrrev_b32_e32 v4, 24, v0
	s_movk_i32 s18, 0x80
	v_and_or_b32 v4, v4, s18, v1
.LBB18_69:
	s_or_b64 exec, exec, s[22:23]
.LBB18_70:
	s_or_b64 exec, exec, s[6:7]
	global_store_byte v[2:3], v4, off
.LBB18_71:
	s_mov_b64 s[6:7], -1
.LBB18_72:
	s_mov_b64 s[18:19], 0
.LBB18_73:
	s_and_b64 vcc, exec, s[18:19]
	s_cbranch_vccz .LBB18_114
; %bb.74:
	s_cmp_gt_i32 s25, 22
	s_mov_b64 s[18:19], -1
	s_cbranch_scc0 .LBB18_106
; %bb.75:
	s_cmp_lt_i32 s25, 24
	s_mov_b64 s[6:7], -1
	s_cbranch_scc1 .LBB18_95
; %bb.76:
	s_cmp_gt_i32 s25, 24
	s_cbranch_scc0 .LBB18_84
; %bb.77:
	v_and_b32_e32 v1, 0x7fffffff, v0
	s_mov_b32 s6, 0x47800000
	v_cmp_gt_u32_e32 vcc, s6, v1
	v_mov_b32_e32 v4, 0x80
	s_and_saveexec_b64 s[6:7], vcc
	s_cbranch_execz .LBB18_83
; %bb.78:
	s_mov_b32 s18, 0x37ffffff
	v_cmp_lt_u32_e32 vcc, s18, v1
	s_mov_b64 s[18:19], 0
                                        ; implicit-def: $vgpr1
	s_and_saveexec_b64 s[22:23], vcc
	s_xor_b64 s[22:23], exec, s[22:23]
	s_cbranch_execz .LBB18_307
; %bb.79:
	v_bfe_u32 v1, v0, 21, 1
	s_mov_b32 s26, 0x88fffff
	v_add3_u32 v1, v0, v1, s26
	s_mov_b64 s[18:19], exec
	v_lshrrev_b32_e32 v1, 21, v1
	s_andn2_saveexec_b64 s[22:23], s[22:23]
	s_cbranch_execnz .LBB18_308
.LBB18_80:
	s_or_b64 exec, exec, s[22:23]
	v_mov_b32_e32 v4, 0
	s_and_saveexec_b64 s[22:23], s[18:19]
.LBB18_81:
	v_lshrrev_b32_e32 v4, 24, v0
	s_movk_i32 s18, 0x80
	v_and_or_b32 v4, v4, s18, v1
.LBB18_82:
	s_or_b64 exec, exec, s[22:23]
.LBB18_83:
	s_or_b64 exec, exec, s[6:7]
	s_mov_b64 s[6:7], 0
	global_store_byte v[2:3], v4, off
.LBB18_84:
	s_and_b64 vcc, exec, s[6:7]
	s_cbranch_vccz .LBB18_94
; %bb.85:
	v_and_b32_e32 v4, 0x7fffffff, v0
	s_mov_b32 s6, 0x43f00000
	v_cmp_gt_u32_e32 vcc, s6, v4
                                        ; implicit-def: $vgpr1
	s_and_saveexec_b64 s[6:7], vcc
	s_xor_b64 s[6:7], exec, s[6:7]
	s_cbranch_execz .LBB18_91
; %bb.86:
	s_mov_b32 s18, 0x3c7fffff
	v_cmp_lt_u32_e32 vcc, s18, v4
                                        ; implicit-def: $vgpr1
	s_and_saveexec_b64 s[18:19], vcc
	s_xor_b64 s[18:19], exec, s[18:19]
; %bb.87:
	v_bfe_u32 v1, v0, 20, 1
	s_mov_b32 s22, 0x407ffff
	v_add3_u32 v1, v0, v1, s22
	v_lshrrev_b32_e32 v4, 20, v1
	v_and_b32_e32 v1, 0xff00000, v1
	s_mov_b32 s22, 0x7f00000
	v_mov_b32_e32 v5, 0x7e
	v_cmp_ne_u32_e32 vcc, s22, v1
	v_cndmask_b32_e32 v1, v5, v4, vcc
; %bb.88:
	s_andn2_saveexec_b64 s[18:19], s[18:19]
; %bb.89:
	s_mov_b32 s22, 0x46800000
	v_add_f32_e64 v1, |v0|, s22
; %bb.90:
	s_or_b64 exec, exec, s[18:19]
                                        ; implicit-def: $vgpr4
.LBB18_91:
	s_andn2_saveexec_b64 s[6:7], s[6:7]
; %bb.92:
	s_mov_b32 s18, 0x7f800000
	v_mov_b32_e32 v1, 0x7e
	v_mov_b32_e32 v5, 0x7f
	v_cmp_lt_u32_e32 vcc, s18, v4
	v_cndmask_b32_e32 v1, v1, v5, vcc
; %bb.93:
	s_or_b64 exec, exec, s[6:7]
	v_lshrrev_b32_e32 v4, 24, v0
	s_movk_i32 s6, 0x80
	v_and_or_b32 v1, v4, s6, v1
	global_store_byte v[2:3], v1, off
.LBB18_94:
	s_mov_b64 s[6:7], 0
.LBB18_95:
	s_andn2_b64 vcc, exec, s[6:7]
	s_cbranch_vccnz .LBB18_105
; %bb.96:
	v_and_b32_e32 v4, 0x7fffffff, v0
	s_mov_b32 s6, 0x47800000
	v_cmp_gt_u32_e32 vcc, s6, v4
                                        ; implicit-def: $vgpr1
	s_and_saveexec_b64 s[6:7], vcc
	s_xor_b64 s[6:7], exec, s[6:7]
	s_cbranch_execz .LBB18_102
; %bb.97:
	s_mov_b32 s18, 0x387fffff
	v_cmp_lt_u32_e32 vcc, s18, v4
                                        ; implicit-def: $vgpr1
	s_and_saveexec_b64 s[18:19], vcc
	s_xor_b64 s[18:19], exec, s[18:19]
; %bb.98:
	v_bfe_u32 v1, v0, 21, 1
	s_mov_b32 s22, 0x80fffff
	v_add3_u32 v1, v0, v1, s22
	v_lshrrev_b32_e32 v1, 21, v1
; %bb.99:
	s_andn2_saveexec_b64 s[18:19], s[18:19]
; %bb.100:
	s_mov_b32 s22, 0x43000000
	v_add_f32_e64 v1, |v0|, s22
; %bb.101:
	s_or_b64 exec, exec, s[18:19]
                                        ; implicit-def: $vgpr4
.LBB18_102:
	s_andn2_saveexec_b64 s[6:7], s[6:7]
; %bb.103:
	s_mov_b32 s18, 0x7f800000
	v_mov_b32_e32 v1, 0x7c
	v_mov_b32_e32 v5, 0x7f
	v_cmp_lt_u32_e32 vcc, s18, v4
	v_cndmask_b32_e32 v1, v1, v5, vcc
; %bb.104:
	s_or_b64 exec, exec, s[6:7]
	v_lshrrev_b32_e32 v4, 24, v0
	s_movk_i32 s6, 0x80
	v_and_or_b32 v1, v4, s6, v1
	global_store_byte v[2:3], v1, off
.LBB18_105:
	s_mov_b64 s[18:19], 0
	s_mov_b64 s[6:7], -1
.LBB18_106:
	s_andn2_b64 vcc, exec, s[18:19]
	s_cbranch_vccnz .LBB18_114
; %bb.107:
	s_cmp_gt_i32 s25, 14
	s_mov_b64 s[18:19], -1
	s_cbranch_scc0 .LBB18_111
; %bb.108:
	s_cmp_eq_u32 s25, 15
	s_mov_b64 s[0:1], -1
	s_cbranch_scc0 .LBB18_110
; %bb.109:
	v_bfe_u32 v1, v0, 16, 1
	s_movk_i32 s0, 0x7fff
	v_add3_u32 v1, v0, v1, s0
	v_cmp_o_f32_e32 vcc, v0, v0
	v_mov_b32_e32 v4, 0x7fc0
	v_cndmask_b32_sdwa v1, v4, v1, vcc dst_sel:DWORD dst_unused:UNUSED_PAD src0_sel:DWORD src1_sel:WORD_1
	global_store_short v[2:3], v1, off
	s_mov_b64 s[6:7], -1
	s_mov_b64 s[0:1], 0
.LBB18_110:
	s_mov_b64 s[18:19], 0
.LBB18_111:
	s_and_b64 vcc, exec, s[18:19]
	s_cbranch_vccz .LBB18_114
; %bb.112:
	s_cmp_eq_u32 s25, 11
	s_mov_b64 s[0:1], -1
	s_cbranch_scc0 .LBB18_114
; %bb.113:
	v_cmp_neq_f32_e32 vcc, 0, v0
	v_cndmask_b32_e64 v1, 0, 1, vcc
	s_mov_b64 s[6:7], -1
	s_mov_b64 s[0:1], 0
	global_store_byte v[2:3], v1, off
.LBB18_114:
	s_branch .LBB18_32
.LBB18_115:
	s_and_b32 s18, 0xffff, s24
	s_cmp_lt_i32 s18, 5
	s_mov_b64 s[6:7], -1
	s_cbranch_scc1 .LBB18_136
; %bb.116:
	s_cmp_lt_i32 s18, 8
	s_cbranch_scc1 .LBB18_126
; %bb.117:
	s_cmp_lt_i32 s18, 9
	s_cbranch_scc1 .LBB18_123
; %bb.118:
	s_cmp_gt_i32 s18, 9
	s_cbranch_scc0 .LBB18_120
; %bb.119:
	v_cvt_f64_f32_e32 v[8:9], v0
	v_mov_b32_e32 v10, 0
	v_mov_b32_e32 v11, v10
	s_mov_b64 s[6:7], 0
	global_store_dwordx4 v[2:3], v[8:11], off
.LBB18_120:
	s_andn2_b64 vcc, exec, s[6:7]
	s_cbranch_vccnz .LBB18_122
; %bb.121:
	v_mov_b32_e32 v1, 0
	global_store_dwordx2 v[2:3], v[0:1], off
.LBB18_122:
	s_mov_b64 s[6:7], 0
.LBB18_123:
	s_andn2_b64 vcc, exec, s[6:7]
	s_cbranch_vccnz .LBB18_125
; %bb.124:
	v_cvt_f16_f32_e32 v1, v0
	global_store_dword v[2:3], v1, off
.LBB18_125:
	s_mov_b64 s[6:7], 0
.LBB18_126:
	s_andn2_b64 vcc, exec, s[6:7]
	s_cbranch_vccnz .LBB18_135
; %bb.127:
	s_cmp_lt_i32 s18, 6
	s_mov_b64 s[6:7], -1
	s_cbranch_scc1 .LBB18_133
; %bb.128:
	s_cmp_gt_i32 s18, 6
	s_cbranch_scc0 .LBB18_130
; %bb.129:
	v_cvt_f64_f32_e32 v[4:5], v0
	s_mov_b64 s[6:7], 0
	global_store_dwordx2 v[2:3], v[4:5], off
.LBB18_130:
	s_andn2_b64 vcc, exec, s[6:7]
	s_cbranch_vccnz .LBB18_132
; %bb.131:
	global_store_dword v[2:3], v0, off
.LBB18_132:
	s_mov_b64 s[6:7], 0
.LBB18_133:
	s_andn2_b64 vcc, exec, s[6:7]
	s_cbranch_vccnz .LBB18_135
; %bb.134:
	v_cvt_f16_f32_e32 v1, v0
	global_store_short v[2:3], v1, off
.LBB18_135:
	s_mov_b64 s[6:7], 0
.LBB18_136:
	s_andn2_b64 vcc, exec, s[6:7]
	s_cbranch_vccnz .LBB18_152
; %bb.137:
	s_cmp_lt_i32 s18, 2
	s_mov_b64 s[6:7], -1
	s_cbranch_scc1 .LBB18_147
; %bb.138:
	s_cmp_lt_i32 s18, 3
	s_cbranch_scc1 .LBB18_144
; %bb.139:
	s_cmp_gt_i32 s18, 3
	s_cbranch_scc0 .LBB18_141
; %bb.140:
	v_trunc_f32_e32 v1, v0
	s_mov_b32 s6, 0x2f800000
	v_mul_f32_e64 v4, |v1|, s6
	v_floor_f32_e32 v4, v4
	s_mov_b32 s6, 0xcf800000
	v_cvt_u32_f32_e32 v5, v4
	v_fma_f32 v4, v4, s6, |v1|
	v_cvt_u32_f32_e32 v4, v4
	v_ashrrev_i32_e32 v1, 31, v1
	v_xor_b32_e32 v5, v5, v1
	s_mov_b64 s[6:7], 0
	v_xor_b32_e32 v4, v4, v1
	v_sub_co_u32_e32 v4, vcc, v4, v1
	v_subb_co_u32_e32 v5, vcc, v5, v1, vcc
	global_store_dwordx2 v[2:3], v[4:5], off
.LBB18_141:
	s_andn2_b64 vcc, exec, s[6:7]
	s_cbranch_vccnz .LBB18_143
; %bb.142:
	v_cvt_i32_f32_e32 v1, v0
	global_store_dword v[2:3], v1, off
.LBB18_143:
	s_mov_b64 s[6:7], 0
.LBB18_144:
	s_andn2_b64 vcc, exec, s[6:7]
	s_cbranch_vccnz .LBB18_146
; %bb.145:
	v_cvt_i32_f32_e32 v1, v0
	global_store_short v[2:3], v1, off
.LBB18_146:
	s_mov_b64 s[6:7], 0
.LBB18_147:
	s_andn2_b64 vcc, exec, s[6:7]
	s_cbranch_vccnz .LBB18_152
; %bb.148:
	s_cmp_gt_i32 s18, 0
	s_mov_b64 s[6:7], -1
	s_cbranch_scc0 .LBB18_150
; %bb.149:
	v_cvt_i32_f32_e32 v1, v0
	s_mov_b64 s[6:7], 0
	global_store_byte v[2:3], v1, off
.LBB18_150:
	s_andn2_b64 vcc, exec, s[6:7]
	s_cbranch_vccnz .LBB18_152
; %bb.151:
	v_trunc_f32_e32 v0, v0
	s_mov_b32 s6, 0x2f800000
	v_mul_f32_e64 v1, |v0|, s6
	v_floor_f32_e32 v1, v1
	s_mov_b32 s6, 0xcf800000
	v_fma_f32 v1, v1, s6, |v0|
	v_cvt_u32_f32_e32 v1, v1
	v_ashrrev_i32_e32 v0, 31, v0
	v_xor_b32_e32 v1, v1, v0
	v_sub_u32_e32 v0, v1, v0
	global_store_byte v[2:3], v0, off
.LBB18_152:
	s_branch .LBB18_33
.LBB18_153:
	s_mov_b64 s[18:19], 0
                                        ; implicit-def: $vgpr7
	s_branch .LBB18_263
.LBB18_154:
	s_mov_b64 s[14:15], -1
                                        ; implicit-def: $vgpr2
.LBB18_155:
	s_mov_b64 s[6:7], 0
.LBB18_156:
	s_and_b64 vcc, exec, s[6:7]
	s_cbranch_vccz .LBB18_160
; %bb.157:
	s_cmp_eq_u32 s22, 29
	s_cbranch_scc0 .LBB18_159
; %bb.158:
	global_load_dwordx2 v[2:3], v[0:1], off
	s_mov_b64 s[0:1], -1
	s_mov_b64 s[14:15], 0
	s_mov_b64 s[6:7], 0
	s_waitcnt vmcnt(0)
	v_ffbh_u32_e32 v4, v3
	v_min_u32_e32 v4, 32, v4
	v_lshlrev_b64 v[2:3], v4, v[2:3]
	v_min_u32_e32 v2, 1, v2
	v_or_b32_e32 v2, v3, v2
	v_cvt_f32_u32_e32 v2, v2
	v_sub_u32_e32 v3, 32, v4
	v_ldexp_f32 v2, v2, v3
	s_branch .LBB18_161
.LBB18_159:
	s_mov_b64 s[14:15], -1
                                        ; implicit-def: $vgpr2
.LBB18_160:
	s_mov_b64 s[6:7], 0
.LBB18_161:
	s_and_b64 vcc, exec, s[6:7]
	s_cbranch_vccz .LBB18_179
; %bb.162:
	s_cmp_lt_i32 s22, 27
	s_cbranch_scc1 .LBB18_165
; %bb.163:
	s_cmp_gt_i32 s22, 27
	s_cbranch_scc0 .LBB18_166
; %bb.164:
	global_load_dword v2, v[0:1], off
	s_mov_b64 s[0:1], 0
	s_waitcnt vmcnt(0)
	v_cvt_f32_u32_e32 v2, v2
	s_branch .LBB18_167
.LBB18_165:
	s_mov_b64 s[0:1], -1
                                        ; implicit-def: $vgpr2
	s_branch .LBB18_170
.LBB18_166:
	s_mov_b64 s[0:1], -1
                                        ; implicit-def: $vgpr2
.LBB18_167:
	s_andn2_b64 vcc, exec, s[0:1]
	s_cbranch_vccnz .LBB18_169
; %bb.168:
	global_load_ushort v2, v[0:1], off
	s_waitcnt vmcnt(0)
	v_cvt_f32_u32_e32 v2, v2
.LBB18_169:
	s_mov_b64 s[0:1], 0
.LBB18_170:
	s_andn2_b64 vcc, exec, s[0:1]
	s_cbranch_vccnz .LBB18_178
; %bb.171:
	global_load_ubyte v3, v[0:1], off
	s_movk_i32 s0, 0x7f
	s_waitcnt vmcnt(0)
	v_cmp_lt_i16_e32 vcc, s0, v3
	s_mov_b64 s[0:1], 0
	s_and_saveexec_b64 s[6:7], vcc
	s_xor_b64 s[6:7], exec, s[6:7]
	s_cbranch_execz .LBB18_191
; %bb.172:
	s_movk_i32 s0, 0x80
	v_cmp_eq_u16_e32 vcc, s0, v3
	s_mov_b64 s[0:1], -1
	s_and_saveexec_b64 s[18:19], vcc
; %bb.173:
	s_xor_b64 s[0:1], exec, -1
; %bb.174:
	s_or_b64 exec, exec, s[18:19]
	s_and_b64 s[0:1], s[0:1], exec
	s_or_saveexec_b64 s[6:7], s[6:7]
	v_mov_b32_e32 v2, 0x7f800001
	s_xor_b64 exec, exec, s[6:7]
	s_cbranch_execnz .LBB18_192
.LBB18_175:
	s_or_b64 exec, exec, s[6:7]
	s_and_saveexec_b64 s[6:7], s[0:1]
	s_cbranch_execz .LBB18_177
.LBB18_176:
	v_lshlrev_b32_e32 v2, 24, v3
	v_and_b32_e32 v3, 0xffff, v3
	v_and_b32_e32 v4, 7, v3
	v_ffbh_u32_e32 v6, v4
	v_min_u32_e32 v6, 32, v6
	v_subrev_u32_e32 v8, 28, v6
	v_bfe_u32 v5, v3, 3, 4
	v_lshlrev_b32_e32 v3, v8, v3
	v_sub_u32_e32 v6, 29, v6
	v_and_b32_e32 v3, 7, v3
	v_cmp_eq_u32_e32 vcc, 0, v5
	v_cndmask_b32_e32 v5, v5, v6, vcc
	v_cndmask_b32_e32 v3, v4, v3, vcc
	v_mov_b32_e32 v4, 0x3b800000
	v_lshlrev_b32_e32 v3, 20, v3
	v_and_b32_e32 v2, 0x80000000, v2
	v_lshl_add_u32 v4, v5, 23, v4
	v_or3_b32 v2, v2, v4, v3
.LBB18_177:
	s_or_b64 exec, exec, s[6:7]
.LBB18_178:
	s_mov_b64 s[0:1], -1
.LBB18_179:
	s_branch .LBB18_214
.LBB18_180:
	s_cmp_gt_i32 s22, 22
	s_cbranch_scc0 .LBB18_190
; %bb.181:
	s_cmp_lt_i32 s22, 24
	s_cbranch_scc1 .LBB18_193
; %bb.182:
	s_cmp_gt_i32 s22, 24
	s_cbranch_scc0 .LBB18_194
; %bb.183:
	global_load_ubyte v3, v[0:1], off
	s_movk_i32 s0, 0x7f
	s_waitcnt vmcnt(0)
	v_cmp_lt_i16_e32 vcc, s0, v3
	s_mov_b64 s[0:1], 0
	s_and_saveexec_b64 s[6:7], vcc
	s_xor_b64 s[6:7], exec, s[6:7]
	s_cbranch_execz .LBB18_206
; %bb.184:
	s_movk_i32 s0, 0x80
	v_cmp_eq_u16_e32 vcc, s0, v3
	s_mov_b64 s[0:1], -1
	s_and_saveexec_b64 s[18:19], vcc
; %bb.185:
	s_xor_b64 s[0:1], exec, -1
; %bb.186:
	s_or_b64 exec, exec, s[18:19]
	s_and_b64 s[0:1], s[0:1], exec
	s_or_saveexec_b64 s[6:7], s[6:7]
	v_mov_b32_e32 v2, 0x7f800001
	s_xor_b64 exec, exec, s[6:7]
	s_cbranch_execnz .LBB18_207
.LBB18_187:
	s_or_b64 exec, exec, s[6:7]
	s_and_saveexec_b64 s[6:7], s[0:1]
	s_cbranch_execz .LBB18_189
.LBB18_188:
	v_lshlrev_b32_e32 v2, 24, v3
	v_and_b32_e32 v3, 0xffff, v3
	v_and_b32_e32 v4, 3, v3
	v_ffbh_u32_e32 v6, v4
	v_min_u32_e32 v6, 32, v6
	v_subrev_u32_e32 v8, 29, v6
	v_bfe_u32 v5, v3, 2, 5
	v_lshlrev_b32_e32 v3, v8, v3
	v_sub_u32_e32 v6, 30, v6
	v_and_b32_e32 v3, 3, v3
	v_cmp_eq_u32_e32 vcc, 0, v5
	v_cndmask_b32_e32 v5, v5, v6, vcc
	v_cndmask_b32_e32 v3, v4, v3, vcc
	v_mov_b32_e32 v4, 0x37800000
	v_lshlrev_b32_e32 v3, 21, v3
	v_and_b32_e32 v2, 0x80000000, v2
	v_lshl_add_u32 v4, v5, 23, v4
	v_or3_b32 v2, v2, v4, v3
.LBB18_189:
	s_or_b64 exec, exec, s[6:7]
	s_mov_b64 s[0:1], 0
	s_branch .LBB18_195
.LBB18_190:
	s_mov_b64 s[6:7], -1
                                        ; implicit-def: $vgpr2
	s_branch .LBB18_201
.LBB18_191:
	s_or_saveexec_b64 s[6:7], s[6:7]
	v_mov_b32_e32 v2, 0x7f800001
	s_xor_b64 exec, exec, s[6:7]
	s_cbranch_execz .LBB18_175
.LBB18_192:
	v_cmp_ne_u16_e32 vcc, 0, v3
	s_andn2_b64 s[0:1], s[0:1], exec
	s_and_b64 s[18:19], vcc, exec
	v_mov_b32_e32 v2, 0
	s_or_b64 s[0:1], s[0:1], s[18:19]
	s_or_b64 exec, exec, s[6:7]
	s_and_saveexec_b64 s[6:7], s[0:1]
	s_cbranch_execnz .LBB18_176
	s_branch .LBB18_177
.LBB18_193:
	s_mov_b64 s[0:1], -1
                                        ; implicit-def: $vgpr2
	s_branch .LBB18_198
.LBB18_194:
	s_mov_b64 s[0:1], -1
                                        ; implicit-def: $vgpr2
.LBB18_195:
	s_and_b64 vcc, exec, s[0:1]
	s_cbranch_vccz .LBB18_197
; %bb.196:
	global_load_ubyte v2, v[0:1], off
	s_mov_b32 s0, 0x7f800000
	s_waitcnt vmcnt(0)
	v_lshlrev_b32_e32 v2, 24, v2
	v_and_b32_e32 v3, 0x7f000000, v2
	v_ffbh_u32_e32 v4, v3
	v_min_u32_e32 v4, 32, v4
	v_sub_u32_e64 v4, v4, 4 clamp
	v_lshlrev_b32_e32 v6, v4, v3
	v_lshlrev_b32_e32 v4, 23, v4
	v_lshrrev_b32_e32 v6, 4, v6
	v_add_u32_e32 v5, 0x1000000, v3
	v_sub_u32_e32 v4, v6, v4
	v_ashrrev_i32_e32 v5, 8, v5
	v_add_u32_e32 v4, 0x3c000000, v4
	v_and_or_b32 v4, v5, s0, v4
	v_cmp_ne_u32_e32 vcc, 0, v3
	v_cndmask_b32_e32 v3, 0, v4, vcc
	s_brev_b32 s0, 1
	v_and_or_b32 v2, v2, s0, v3
.LBB18_197:
	s_mov_b64 s[0:1], 0
.LBB18_198:
	s_andn2_b64 vcc, exec, s[0:1]
	s_cbranch_vccnz .LBB18_200
; %bb.199:
	global_load_ubyte v2, v[0:1], off
	s_movk_i32 s0, 0x7f00
	s_brev_b32 s1, 16
	s_waitcnt vmcnt(0)
	v_lshlrev_b16_e32 v3, 8, v2
	v_lshlrev_b32_e32 v2, 25, v2
	v_lshrrev_b32_e32 v4, 4, v2
	v_and_or_b32 v5, v3, s0, 0.5
	v_or_b32_e32 v4, 0x70000000, v4
	v_add_f32_e32 v5, -0.5, v5
	v_mul_f32_e32 v4, 0x7800000, v4
	v_cmp_gt_u32_e32 vcc, s1, v2
	v_bfe_i32 v3, v3, 0, 16
	v_cndmask_b32_e32 v2, v4, v5, vcc
	s_brev_b32 s0, 1
	v_and_or_b32 v2, v3, s0, v2
.LBB18_200:
	s_mov_b64 s[6:7], 0
	s_mov_b64 s[0:1], -1
.LBB18_201:
	s_andn2_b64 vcc, exec, s[6:7]
	s_cbranch_vccnz .LBB18_214
; %bb.202:
	s_cmp_gt_i32 s22, 14
	s_cbranch_scc0 .LBB18_205
; %bb.203:
	s_cmp_eq_u32 s22, 15
	s_cbranch_scc0 .LBB18_208
; %bb.204:
	global_load_ushort v2, v[0:1], off
	s_mov_b64 s[0:1], -1
	s_mov_b64 s[14:15], 0
	s_waitcnt vmcnt(0)
	v_lshlrev_b32_e32 v2, 16, v2
	s_branch .LBB18_209
.LBB18_205:
	s_mov_b64 s[6:7], -1
                                        ; implicit-def: $vgpr2
	s_branch .LBB18_210
.LBB18_206:
	s_or_saveexec_b64 s[6:7], s[6:7]
	v_mov_b32_e32 v2, 0x7f800001
	s_xor_b64 exec, exec, s[6:7]
	s_cbranch_execz .LBB18_187
.LBB18_207:
	v_cmp_ne_u16_e32 vcc, 0, v3
	s_andn2_b64 s[0:1], s[0:1], exec
	s_and_b64 s[18:19], vcc, exec
	v_mov_b32_e32 v2, 0
	s_or_b64 s[0:1], s[0:1], s[18:19]
	s_or_b64 exec, exec, s[6:7]
	s_and_saveexec_b64 s[6:7], s[0:1]
	s_cbranch_execnz .LBB18_188
	s_branch .LBB18_189
.LBB18_208:
	s_mov_b64 s[14:15], -1
                                        ; implicit-def: $vgpr2
.LBB18_209:
	s_mov_b64 s[6:7], 0
.LBB18_210:
	s_and_b64 vcc, exec, s[6:7]
	s_cbranch_vccz .LBB18_214
; %bb.211:
	s_cmp_eq_u32 s22, 11
	s_cbranch_scc0 .LBB18_213
; %bb.212:
	global_load_ubyte v2, v[0:1], off
	s_mov_b64 s[0:1], -1
	s_mov_b64 s[14:15], 0
	s_waitcnt vmcnt(0)
	v_cmp_ne_u16_e32 vcc, 0, v2
	v_cndmask_b32_e64 v2, 0, 1.0, vcc
	s_branch .LBB18_214
.LBB18_213:
	s_mov_b64 s[14:15], -1
                                        ; implicit-def: $vgpr2
.LBB18_214:
	s_branch .LBB18_10
.LBB18_215:
	s_cmp_lt_i32 s22, 5
	s_cbranch_scc1 .LBB18_220
; %bb.216:
	s_cmp_lt_i32 s22, 8
	s_cbranch_scc1 .LBB18_221
; %bb.217:
	;; [unrolled: 3-line block ×3, first 2 shown]
	s_cmp_gt_i32 s22, 9
	s_cbranch_scc0 .LBB18_223
; %bb.219:
	global_load_dwordx2 v[2:3], v[0:1], off
	s_mov_b64 s[0:1], 0
	s_waitcnt vmcnt(0)
	v_cvt_f32_f64_e32 v2, v[2:3]
	s_branch .LBB18_224
.LBB18_220:
                                        ; implicit-def: $vgpr2
	s_branch .LBB18_242
.LBB18_221:
	s_mov_b64 s[0:1], -1
                                        ; implicit-def: $vgpr2
	s_branch .LBB18_230
.LBB18_222:
	s_mov_b64 s[0:1], -1
                                        ; implicit-def: $vgpr2
	s_branch .LBB18_227
.LBB18_223:
	s_mov_b64 s[0:1], -1
                                        ; implicit-def: $vgpr2
.LBB18_224:
	s_andn2_b64 vcc, exec, s[0:1]
	s_cbranch_vccnz .LBB18_226
; %bb.225:
	global_load_dword v2, v[0:1], off
.LBB18_226:
	s_mov_b64 s[0:1], 0
.LBB18_227:
	s_andn2_b64 vcc, exec, s[0:1]
	s_cbranch_vccnz .LBB18_229
; %bb.228:
	global_load_dword v2, v[0:1], off
	s_waitcnt vmcnt(0)
	v_cvt_f32_f16_e32 v2, v2
.LBB18_229:
	s_mov_b64 s[0:1], 0
.LBB18_230:
	s_andn2_b64 vcc, exec, s[0:1]
	s_cbranch_vccnz .LBB18_241
; %bb.231:
	s_cmp_lt_i32 s22, 6
	s_cbranch_scc1 .LBB18_234
; %bb.232:
	s_cmp_gt_i32 s22, 6
	s_cbranch_scc0 .LBB18_235
; %bb.233:
	global_load_dwordx2 v[2:3], v[0:1], off
	s_mov_b64 s[0:1], 0
	s_waitcnt vmcnt(0)
	v_cvt_f32_f64_e32 v2, v[2:3]
	s_branch .LBB18_236
.LBB18_234:
	s_mov_b64 s[0:1], -1
                                        ; implicit-def: $vgpr2
	s_branch .LBB18_239
.LBB18_235:
	s_mov_b64 s[0:1], -1
                                        ; implicit-def: $vgpr2
.LBB18_236:
	s_andn2_b64 vcc, exec, s[0:1]
	s_cbranch_vccnz .LBB18_238
; %bb.237:
	global_load_dword v2, v[0:1], off
.LBB18_238:
	s_mov_b64 s[0:1], 0
.LBB18_239:
	s_andn2_b64 vcc, exec, s[0:1]
	s_cbranch_vccnz .LBB18_241
; %bb.240:
	global_load_ushort v2, v[0:1], off
	s_waitcnt vmcnt(0)
	v_cvt_f32_f16_e32 v2, v2
.LBB18_241:
	s_cbranch_execnz .LBB18_261
.LBB18_242:
	s_cmp_lt_i32 s22, 2
	s_cbranch_scc1 .LBB18_246
; %bb.243:
	s_cmp_lt_i32 s22, 3
	s_cbranch_scc1 .LBB18_247
; %bb.244:
	s_cmp_gt_i32 s22, 3
	s_cbranch_scc0 .LBB18_248
; %bb.245:
	global_load_dwordx2 v[2:3], v[0:1], off
	s_mov_b64 s[0:1], 0
	s_waitcnt vmcnt(0)
	v_xor_b32_e32 v5, v2, v3
	v_ffbh_i32_e32 v4, v3
	v_ashrrev_i32_e32 v5, 31, v5
	v_add_u32_e32 v4, -1, v4
	v_add_u32_e32 v5, 32, v5
	v_min_u32_e32 v4, v4, v5
	v_lshlrev_b64 v[2:3], v4, v[2:3]
	v_min_u32_e32 v2, 1, v2
	v_or_b32_e32 v2, v3, v2
	v_cvt_f32_i32_e32 v2, v2
	v_sub_u32_e32 v3, 32, v4
	v_ldexp_f32 v2, v2, v3
	s_branch .LBB18_249
.LBB18_246:
	s_mov_b64 s[0:1], -1
                                        ; implicit-def: $vgpr2
	s_branch .LBB18_255
.LBB18_247:
	s_mov_b64 s[0:1], -1
                                        ; implicit-def: $vgpr2
	s_branch .LBB18_252
.LBB18_248:
	s_mov_b64 s[0:1], -1
                                        ; implicit-def: $vgpr2
.LBB18_249:
	s_andn2_b64 vcc, exec, s[0:1]
	s_cbranch_vccnz .LBB18_251
; %bb.250:
	global_load_dword v2, v[0:1], off
	s_waitcnt vmcnt(0)
	v_cvt_f32_i32_e32 v2, v2
.LBB18_251:
	s_mov_b64 s[0:1], 0
.LBB18_252:
	s_andn2_b64 vcc, exec, s[0:1]
	s_cbranch_vccnz .LBB18_254
; %bb.253:
	global_load_sshort v2, v[0:1], off
	s_waitcnt vmcnt(0)
	v_cvt_f32_i32_e32 v2, v2
.LBB18_254:
	s_mov_b64 s[0:1], 0
.LBB18_255:
	s_andn2_b64 vcc, exec, s[0:1]
	s_cbranch_vccnz .LBB18_261
; %bb.256:
	s_cmp_gt_i32 s22, 0
	s_cbranch_scc0 .LBB18_258
; %bb.257:
	global_load_sbyte v2, v[0:1], off
	s_mov_b64 s[0:1], 0
	s_waitcnt vmcnt(0)
	v_cvt_f32_i32_e32 v2, v2
	s_branch .LBB18_259
.LBB18_258:
	s_mov_b64 s[0:1], -1
                                        ; implicit-def: $vgpr2
.LBB18_259:
	s_andn2_b64 vcc, exec, s[0:1]
	s_cbranch_vccnz .LBB18_261
; %bb.260:
	global_load_ubyte v0, v[0:1], off
	s_waitcnt vmcnt(0)
	v_cvt_f32_ubyte0_e32 v2, v0
.LBB18_261:
	s_branch .LBB18_11
.LBB18_262:
	s_mov_b64 s[0:1], 0
                                        ; implicit-def: $vgpr7
	s_mov_b64 s[18:19], 0
.LBB18_263:
	s_and_b64 s[6:7], s[0:1], exec
	s_and_b64 s[14:15], s[14:15], exec
	s_orn2_b64 s[18:19], s[18:19], exec
.LBB18_264:
	s_or_b64 exec, exec, s[16:17]
	s_mov_b64 s[22:23], 0
	s_mov_b64 s[0:1], 0
                                        ; implicit-def: $vgpr0_vgpr1
                                        ; implicit-def: $vgpr4
	s_and_saveexec_b64 s[16:17], s[18:19]
	s_cbranch_execz .LBB18_273
; %bb.265:
	v_cmp_gt_i32_e32 vcc, s38, v7
	s_mov_b64 s[0:1], -1
	s_mov_b64 s[18:19], s[14:15]
	s_mov_b64 s[20:21], s[6:7]
	s_and_saveexec_b64 s[22:23], vcc
	s_cbranch_execz .LBB18_537
; %bb.266:
	v_mul_lo_u32 v0, v7, s3
	v_mov_b32_e32 v1, s11
	s_and_b32 s26, 0xffff, s42
	s_cmp_lt_i32 s26, 11
	s_waitcnt vmcnt(0)
	v_ashrrev_i32_e32 v2, 31, v0
	v_add_co_u32_e32 v0, vcc, s10, v0
	v_addc_co_u32_e32 v1, vcc, v1, v2, vcc
	s_cbranch_scc1 .LBB18_276
; %bb.267:
	s_cmp_gt_i32 s26, 25
	s_cbranch_scc0 .LBB18_297
; %bb.268:
	s_cmp_gt_i32 s26, 28
	s_cbranch_scc0 .LBB18_299
	;; [unrolled: 3-line block ×4, first 2 shown]
; %bb.271:
	s_cmp_eq_u32 s26, 46
	s_mov_b64 s[20:21], 0
	s_cbranch_scc0 .LBB18_309
; %bb.272:
	global_load_dword v2, v[0:1], off
	s_mov_b64 s[18:19], 0
	s_waitcnt vmcnt(0)
	v_lshlrev_b32_e32 v2, 16, v2
	s_branch .LBB18_310
.LBB18_273:
	s_or_b64 exec, exec, s[16:17]
	s_mov_b64 s[16:17], 0
	s_and_saveexec_b64 s[18:19], s[14:15]
	s_cbranch_execnz .LBB18_895
.LBB18_274:
	s_or_b64 exec, exec, s[18:19]
	s_and_saveexec_b64 s[14:15], s[20:21]
	s_xor_b64 s[14:15], exec, s[14:15]
	s_cbranch_execz .LBB18_896
.LBB18_275:
	global_load_ubyte v2, v[0:1], off
	s_or_b64 s[0:1], s[0:1], exec
	s_waitcnt vmcnt(0)
	v_cmp_ne_u16_e32 vcc, 0, v2
	v_cndmask_b32_e64 v4, 0, 1.0, vcc
	s_or_b64 exec, exec, s[14:15]
	s_and_saveexec_b64 s[14:15], s[22:23]
	s_cbranch_execz .LBB18_942
	s_branch .LBB18_897
.LBB18_276:
	s_mov_b64 s[0:1], 0
                                        ; implicit-def: $vgpr2
	s_mov_b64 s[18:19], s[14:15]
	s_cbranch_execnz .LBB18_487
.LBB18_277:
	s_andn2_b64 vcc, exec, s[0:1]
	s_cbranch_vccnz .LBB18_535
.LBB18_278:
	s_mov_b32 s0, 0x41000000
	s_waitcnt vmcnt(0)
	v_cmp_le_f32_e64 s[0:1], |v2|, s0
                                        ; implicit-def: $vgpr0
	s_and_saveexec_b64 s[20:21], s[0:1]
	s_xor_b64 s[20:21], exec, s[20:21]
	s_cbranch_execz .LBB18_284
; %bb.279:
	v_fma_f32 v0, |v2|, 0.5, -2.0
	v_mov_b32_e32 v1, 0xa3c2be86
	v_fmac_f32_e32 v1, 0x224cf950, v0
	v_mov_b32_e32 v3, 0xa24cf950
	v_fmac_f32_e32 v3, v0, v1
	v_add_f32_e32 v3, 0x25331f1f, v3
	v_fma_f32 v1, v0, v3, -v1
	v_add_f32_e32 v1, 0xa69f5554, v1
	v_fma_f32 v3, v0, v1, -v3
	;; [unrolled: 2-line block ×25, first 2 shown]
	v_add_f32_e32 v1, 0xbe34a688, v1
	s_mov_b32 s0, 0x3fb8aa3b
	v_fma_f32 v0, v0, v1, -v3
	v_mul_f32_e64 v1, |v2|, s0
	v_rndne_f32_e32 v4, v1
	v_sub_f32_e32 v5, v1, v4
	v_fma_f32 v1, |v2|, s0, -v1
	s_mov_b32 s0, 0x32a5705f
	v_fma_f32 v1, |v2|, s0, v1
	v_add_f32_e32 v1, v5, v1
	v_exp_f32_e32 v5, v1
	v_cvt_i32_f32_e32 v4, v4
	v_add_f32_e32 v0, 0x3e81531c, v0
	v_sub_f32_e32 v0, v0, v3
	v_mul_f32_e32 v0, 0.5, v0
	s_mov_b32 s0, 0xc2ce8ed0
	v_mul_f32_e64 v1, |v2|, v0
	v_ldexp_f32 v0, v5, v4
	v_cmp_nlt_f32_e64 s[0:1], |v2|, s0
	v_cndmask_b32_e64 v0, 0, v0, s[0:1]
	s_mov_b32 s0, 0x42b17218
	v_mov_b32_e32 v3, 0x7f800000
	v_cmp_ngt_f32_e64 s[0:1], |v2|, s0
	v_cmp_ngt_f32_e32 vcc, 0, v2
	v_cndmask_b32_e64 v2, v3, v0, s[0:1]
                                        ; implicit-def: $vgpr0
	s_and_saveexec_b64 s[0:1], vcc
	s_xor_b64 s[0:1], exec, s[0:1]
; %bb.280:
	v_mul_f32_e32 v0, v2, v1
                                        ; implicit-def: $vgpr2
                                        ; implicit-def: $vgpr1
; %bb.281:
	s_andn2_saveexec_b64 s[0:1], s[0:1]
; %bb.282:
	v_mul_f32_e64 v0, v1, -v2
; %bb.283:
	s_or_b64 exec, exec, s[0:1]
                                        ; implicit-def: $vgpr2
.LBB18_284:
	s_andn2_saveexec_b64 s[20:21], s[20:21]
	s_cbranch_execz .LBB18_290
; %bb.285:
	v_and_b32_e32 v0, 0x7fffffff, v2
	s_mov_b32 s24, 0x42000000
	v_div_scale_f32 v1, s[0:1], v0, v0, s24
	v_div_scale_f32 v0, vcc, s24, v0, s24
	s_mov_b32 s25, 0x3fb8aa3b
	s_mov_b32 s26, 0x32a5705f
	v_mov_b32_e32 v3, 0x22a2dc57
	v_mov_b32_e32 v5, 0xa30aab6e
	v_cmp_ngt_f32_e64 s[0:1], 0, v2
	v_rcp_f32_e32 v4, v1
	v_fma_f32 v6, -v1, v4, 1.0
	v_fmac_f32_e32 v4, v6, v4
	v_mul_f32_e32 v6, v0, v4
	v_fma_f32 v8, -v1, v6, v0
	v_fmac_f32_e32 v6, v8, v4
	v_fma_f32 v0, -v1, v6, v0
	v_div_fmas_f32 v0, v0, v4, v6
	v_mul_f32_e64 v1, |v2|, s25
	v_rndne_f32_e32 v4, v1
	v_fma_f32 v6, |v2|, s25, -v1
	v_sub_f32_e32 v1, v1, v4
	v_fma_f32 v6, |v2|, s26, v6
	v_add_f32_e32 v1, v1, v6
	v_cvt_i32_f32_e32 v4, v4
	v_exp_f32_e32 v1, v1
	s_mov_b32 s25, 0xc2ce8ed0
	s_mov_b32 s26, 0x42b17218
	v_cmp_nlt_f32_e64 vcc, |v2|, s25
	v_ldexp_f32 v1, v1, v4
	v_mov_b32_e32 v6, 0x7f800000
	v_cndmask_b32_e32 v1, 0, v1, vcc
	v_cmp_ngt_f32_e64 vcc, |v2|, s26
	v_div_fixup_f32 v0, v0, |v2|, s24
	v_add_f32_e32 v0, -2.0, v0
	v_fmac_f32_e32 v3, 0x230aab6e, v0
	v_fmac_f32_e32 v5, v0, v3
	v_add_f32_e32 v4, 0xa456751e, v5
	v_fma_f32 v3, v0, v4, -v3
	v_add_f32_e32 v3, 0xa4140365, v3
	v_fma_f32 v4, v0, v3, -v4
	;; [unrolled: 2-line block ×22, first 2 shown]
	v_add_f32_e32 v0, 0x3f4750c6, v0
	v_cndmask_b32_e32 v1, v6, v1, vcc
	v_sub_f32_e32 v3, v0, v4
                                        ; implicit-def: $vgpr0
	s_and_saveexec_b64 s[24:25], s[0:1]
	s_xor_b64 s[24:25], exec, s[24:25]
	s_cbranch_execz .LBB18_287
; %bb.286:
	s_mov_b32 s0, 0xf800000
	s_mov_b32 s1, 0x4f800000
	v_mul_f32_e64 v0, |v2|, s1
	v_cmp_lt_f32_e64 vcc, |v2|, s0
	v_cndmask_b32_e64 v0, |v2|, v0, vcc
	v_sqrt_f32_e32 v2, v0
	v_mul_f32_e32 v3, 0.5, v3
	v_mul_f32_e32 v1, v1, v3
	v_add_u32_e32 v3, -1, v2
	v_fma_f32 v4, -v3, v2, v0
	v_cmp_ge_f32_e64 s[0:1], 0, v4
	v_add_u32_e32 v4, 1, v2
	v_cndmask_b32_e64 v3, v2, v3, s[0:1]
	v_fma_f32 v2, -v4, v2, v0
	v_cmp_lt_f32_e64 s[0:1], 0, v2
	v_cndmask_b32_e64 v2, v3, v4, s[0:1]
	v_mul_f32_e32 v3, 0x37800000, v2
	v_cndmask_b32_e32 v2, v2, v3, vcc
	v_mov_b32_e32 v3, 0x260
	v_cmp_class_f32_e32 vcc, v0, v3
	v_cndmask_b32_e32 v0, v2, v0, vcc
	v_div_scale_f32 v2, s[0:1], v0, v0, v1
	v_div_scale_f32 v3, vcc, v1, v0, v1
	v_rcp_f32_e32 v4, v2
	v_fma_f32 v5, -v2, v4, 1.0
	v_fmac_f32_e32 v4, v5, v4
	v_mul_f32_e32 v5, v3, v4
	v_fma_f32 v6, -v2, v5, v3
	v_fmac_f32_e32 v5, v6, v4
	v_fma_f32 v2, -v2, v5, v3
	v_div_fmas_f32 v2, v2, v4, v5
                                        ; implicit-def: $vgpr3
	v_div_fixup_f32 v0, v2, v0, v1
                                        ; implicit-def: $vgpr2
                                        ; implicit-def: $vgpr1
.LBB18_287:
	s_andn2_saveexec_b64 s[24:25], s[24:25]
	s_cbranch_execz .LBB18_289
; %bb.288:
	s_mov_b32 s0, 0xf800000
	s_mov_b32 s1, 0x4f800000
	v_mul_f32_e64 v0, |v2|, s1
	v_cmp_lt_f32_e64 vcc, |v2|, s0
	v_cndmask_b32_e64 v0, |v2|, v0, vcc
	v_sqrt_f32_e32 v2, v0
	v_add_u32_e32 v4, -1, v2
	v_fma_f32 v5, -v4, v2, v0
	v_cmp_ge_f32_e64 s[0:1], 0, v5
	v_add_u32_e32 v5, 1, v2
	v_cndmask_b32_e64 v4, v2, v4, s[0:1]
	v_fma_f32 v2, -v5, v2, v0
	v_cmp_lt_f32_e64 s[0:1], 0, v2
	v_cndmask_b32_e64 v2, v4, v5, s[0:1]
	v_mul_f32_e32 v4, 0x37800000, v2
	v_cndmask_b32_e32 v2, v2, v4, vcc
	v_mov_b32_e32 v4, 0x260
	v_cmp_class_f32_e32 vcc, v0, v4
	v_cndmask_b32_e32 v0, v2, v0, vcc
	v_mul_f32_e32 v2, -0.5, v3
	v_mul_f32_e32 v1, v1, v2
	v_div_scale_f32 v2, s[0:1], v0, v0, v1
	v_div_scale_f32 v3, vcc, v1, v0, v1
	v_rcp_f32_e32 v4, v2
	v_fma_f32 v5, -v2, v4, 1.0
	v_fmac_f32_e32 v4, v5, v4
	v_mul_f32_e32 v5, v3, v4
	v_fma_f32 v6, -v2, v5, v3
	v_fmac_f32_e32 v5, v6, v4
	v_fma_f32 v2, -v2, v5, v3
	v_div_fmas_f32 v2, v2, v4, v5
	v_div_fixup_f32 v0, v2, v0, v1
.LBB18_289:
	s_or_b64 exec, exec, s[24:25]
.LBB18_290:
	s_or_b64 exec, exec, s[20:21]
	v_mul_lo_u32 v1, v7, s2
	v_mov_b32_e32 v3, s9
	s_and_b32 s28, s33, 0xff
	s_cmp_lt_i32 s28, 11
	v_ashrrev_i32_e32 v4, 31, v1
	v_add_co_u32_e32 v2, vcc, s8, v1
	v_addc_co_u32_e32 v3, vcc, v3, v4, vcc
	s_cbranch_scc1 .LBB18_298
; %bb.291:
	s_and_b32 s29, 0xffff, s28
	s_cmp_gt_i32 s29, 25
	s_cbranch_scc0 .LBB18_300
; %bb.292:
	s_cmp_gt_i32 s29, 28
	s_cbranch_scc0 .LBB18_302
; %bb.293:
	;; [unrolled: 3-line block ×4, first 2 shown]
	s_mov_b64 s[24:25], 0
	s_mov_b64 s[0:1], -1
	s_cmp_eq_u32 s29, 46
	s_mov_b64 s[20:21], 0
	s_cbranch_scc0 .LBB18_314
; %bb.296:
	v_bfe_u32 v1, v0, 16, 1
	s_movk_i32 s0, 0x7fff
	v_add3_u32 v1, v0, v1, s0
	v_cmp_o_f32_e32 vcc, v0, v0
	v_mov_b32_e32 v4, 0x7fc0
	v_cndmask_b32_sdwa v1, v4, v1, vcc dst_sel:DWORD dst_unused:UNUSED_PAD src0_sel:DWORD src1_sel:WORD_1
	global_store_dword v[2:3], v1, off
	s_mov_b64 s[20:21], -1
	s_mov_b64 s[0:1], 0
	s_branch .LBB18_314
.LBB18_297:
	s_mov_b64 s[20:21], -1
	s_mov_b64 s[0:1], 0
	s_mov_b64 s[18:19], s[14:15]
                                        ; implicit-def: $vgpr2
	s_branch .LBB18_451
.LBB18_298:
	s_mov_b64 s[24:25], -1
	s_mov_b64 s[20:21], 0
	s_mov_b64 s[0:1], s[6:7]
	s_branch .LBB18_383
.LBB18_299:
	s_mov_b64 s[20:21], -1
	s_mov_b64 s[0:1], 0
	s_mov_b64 s[18:19], s[14:15]
                                        ; implicit-def: $vgpr2
	s_branch .LBB18_432
.LBB18_300:
	s_mov_b64 s[24:25], -1
	s_mov_b64 s[20:21], 0
	s_mov_b64 s[0:1], s[6:7]
	s_branch .LBB18_341
.LBB18_301:
	s_mov_b64 s[20:21], -1
	s_mov_b64 s[0:1], 0
	s_mov_b64 s[18:19], s[14:15]
                                        ; implicit-def: $vgpr2
	s_branch .LBB18_427
.LBB18_302:
	s_mov_b64 s[24:25], -1
	s_mov_b64 s[20:21], 0
	s_mov_b64 s[0:1], s[6:7]
	s_branch .LBB18_324
.LBB18_303:
	s_andn2_saveexec_b64 s[22:23], s[22:23]
	s_cbranch_execz .LBB18_67
.LBB18_304:
	s_mov_b32 s26, 0x46000000
	v_add_f32_e64 v1, |v0|, s26
	v_and_b32_e32 v1, 0xff, v1
	v_cmp_ne_u32_e32 vcc, 0, v1
	s_andn2_b64 s[18:19], s[18:19], exec
	s_and_b64 s[26:27], vcc, exec
	s_or_b64 s[18:19], s[18:19], s[26:27]
	s_or_b64 exec, exec, s[22:23]
	v_mov_b32_e32 v4, 0
	s_and_saveexec_b64 s[22:23], s[18:19]
	s_cbranch_execnz .LBB18_68
	s_branch .LBB18_69
.LBB18_305:
	s_mov_b64 s[20:21], -1
	s_mov_b64 s[0:1], 0
	s_mov_b64 s[18:19], s[14:15]
                                        ; implicit-def: $vgpr2
	s_branch .LBB18_310
.LBB18_306:
	s_mov_b64 s[24:25], -1
	s_mov_b64 s[20:21], 0
	s_mov_b64 s[0:1], s[6:7]
	s_branch .LBB18_320
.LBB18_307:
	s_andn2_saveexec_b64 s[22:23], s[22:23]
	s_cbranch_execz .LBB18_80
.LBB18_308:
	s_mov_b32 s26, 0x42800000
	v_add_f32_e64 v1, |v0|, s26
	v_and_b32_e32 v1, 0xff, v1
	v_cmp_ne_u32_e32 vcc, 0, v1
	s_andn2_b64 s[18:19], s[18:19], exec
	s_and_b64 s[26:27], vcc, exec
	s_or_b64 s[18:19], s[18:19], s[26:27]
	s_or_b64 exec, exec, s[22:23]
	v_mov_b32_e32 v4, 0
	s_and_saveexec_b64 s[22:23], s[18:19]
	s_cbranch_execnz .LBB18_81
	s_branch .LBB18_82
.LBB18_309:
	s_mov_b64 s[18:19], -1
                                        ; implicit-def: $vgpr2
	s_mov_b64 s[0:1], 0
.LBB18_310:
	s_and_b64 vcc, exec, s[20:21]
	s_cbranch_vccz .LBB18_426
; %bb.311:
	s_cmp_eq_u32 s26, 44
	s_cbranch_scc0 .LBB18_425
; %bb.312:
	global_load_ubyte v2, v[0:1], off
	s_movk_i32 s18, 0xff
	v_mov_b32_e32 v3, 0x7f800001
	v_mov_b32_e32 v4, 0x400000
	s_mov_b64 s[0:1], -1
	s_waitcnt vmcnt(0)
	v_lshlrev_b32_e32 v5, 23, v2
	v_cmp_ne_u32_e32 vcc, s18, v2
	v_cndmask_b32_e32 v3, v3, v5, vcc
	v_cmp_ne_u32_e32 vcc, 0, v2
	v_cndmask_b32_e32 v2, v4, v3, vcc
	s_mov_b64 s[18:19], 0
	s_branch .LBB18_426
.LBB18_313:
	s_mov_b64 s[24:25], -1
	s_mov_b64 s[20:21], 0
	s_mov_b64 s[0:1], s[6:7]
.LBB18_314:
	s_and_b64 vcc, exec, s[24:25]
	s_cbranch_vccz .LBB18_319
; %bb.315:
	s_cmp_eq_u32 s29, 44
	s_mov_b64 s[0:1], -1
	s_cbranch_scc0 .LBB18_319
; %bb.316:
	v_bfe_u32 v1, v0, 23, 8
	s_movk_i32 s0, 0xff
	v_cmp_ne_u32_e32 vcc, s0, v1
	v_mov_b32_e32 v4, 0xff
	s_and_saveexec_b64 s[20:21], vcc
; %bb.317:
	s_mov_b32 s0, 0x3fffff
	v_and_b32_e32 v5, 0x400000, v0
	v_and_or_b32 v1, v0, s0, v1
	v_cmp_ne_u32_e32 vcc, 0, v5
	v_cmp_ne_u32_e64 s[0:1], 0, v1
	s_and_b64 s[0:1], vcc, s[0:1]
	v_lshrrev_b32_e32 v4, 23, v0
	v_cndmask_b32_e64 v1, 0, 1, s[0:1]
	v_add_u32_e32 v4, v4, v1
; %bb.318:
	s_or_b64 exec, exec, s[20:21]
	s_mov_b64 s[20:21], -1
	s_mov_b64 s[0:1], 0
	global_store_byte v[2:3], v4, off
.LBB18_319:
	s_mov_b64 s[24:25], 0
.LBB18_320:
	s_and_b64 vcc, exec, s[24:25]
	s_cbranch_vccz .LBB18_323
; %bb.321:
	s_cmp_eq_u32 s29, 29
	s_mov_b64 s[0:1], -1
	s_cbranch_scc0 .LBB18_323
; %bb.322:
	v_trunc_f32_e32 v1, v0
	v_mul_f32_e32 v4, 0x2f800000, v1
	v_floor_f32_e32 v4, v4
	v_fmac_f32_e32 v1, 0xcf800000, v4
	v_cvt_u32_f32_e32 v5, v4
	v_cvt_u32_f32_e32 v4, v1
	s_mov_b64 s[20:21], -1
	s_mov_b64 s[0:1], 0
	s_mov_b64 s[24:25], 0
	global_store_dwordx2 v[2:3], v[4:5], off
	s_branch .LBB18_324
.LBB18_323:
	s_mov_b64 s[24:25], 0
.LBB18_324:
	s_and_b64 vcc, exec, s[24:25]
	s_cbranch_vccz .LBB18_340
; %bb.325:
	s_cmp_lt_i32 s29, 27
	s_mov_b64 s[20:21], -1
	s_cbranch_scc1 .LBB18_331
; %bb.326:
	v_cvt_u32_f32_e32 v1, v0
	s_cmp_gt_i32 s29, 27
	s_cbranch_scc0 .LBB18_328
; %bb.327:
	s_mov_b64 s[20:21], 0
	global_store_dword v[2:3], v1, off
.LBB18_328:
	s_andn2_b64 vcc, exec, s[20:21]
	s_cbranch_vccnz .LBB18_330
; %bb.329:
	global_store_short v[2:3], v1, off
.LBB18_330:
	s_mov_b64 s[20:21], 0
.LBB18_331:
	s_andn2_b64 vcc, exec, s[20:21]
	s_cbranch_vccnz .LBB18_339
; %bb.332:
	v_and_b32_e32 v1, 0x7fffffff, v0
	s_mov_b32 s20, 0x43800000
	v_cmp_gt_u32_e32 vcc, s20, v1
	v_mov_b32_e32 v4, 0x80
	s_and_saveexec_b64 s[20:21], vcc
	s_cbranch_execz .LBB18_338
; %bb.333:
	s_mov_b32 s24, 0x3bffffff
	v_cmp_lt_u32_e32 vcc, s24, v1
	s_mov_b64 s[24:25], 0
                                        ; implicit-def: $vgpr1
	s_and_saveexec_b64 s[26:27], vcc
	s_xor_b64 s[26:27], exec, s[26:27]
	s_cbranch_execz .LBB18_550
; %bb.334:
	v_bfe_u32 v1, v0, 20, 1
	s_mov_b32 s30, 0x487ffff
	v_add3_u32 v1, v0, v1, s30
	s_mov_b64 s[24:25], exec
	v_lshrrev_b32_e32 v1, 20, v1
	s_andn2_saveexec_b64 s[26:27], s[26:27]
	s_cbranch_execnz .LBB18_551
.LBB18_335:
	s_or_b64 exec, exec, s[26:27]
	v_mov_b32_e32 v4, 0
	s_and_saveexec_b64 s[26:27], s[24:25]
.LBB18_336:
	v_lshrrev_b32_e32 v4, 24, v0
	s_movk_i32 s24, 0x80
	v_and_or_b32 v4, v4, s24, v1
.LBB18_337:
	s_or_b64 exec, exec, s[26:27]
.LBB18_338:
	s_or_b64 exec, exec, s[20:21]
	global_store_byte v[2:3], v4, off
.LBB18_339:
	s_mov_b64 s[20:21], -1
.LBB18_340:
	s_mov_b64 s[24:25], 0
.LBB18_341:
	s_and_b64 vcc, exec, s[24:25]
	s_cbranch_vccz .LBB18_382
; %bb.342:
	s_cmp_gt_i32 s29, 22
	s_mov_b64 s[24:25], -1
	s_cbranch_scc0 .LBB18_374
; %bb.343:
	s_cmp_lt_i32 s29, 24
	s_mov_b64 s[20:21], -1
	s_cbranch_scc1 .LBB18_363
; %bb.344:
	s_cmp_gt_i32 s29, 24
	s_cbranch_scc0 .LBB18_352
; %bb.345:
	v_and_b32_e32 v1, 0x7fffffff, v0
	s_mov_b32 s20, 0x47800000
	v_cmp_gt_u32_e32 vcc, s20, v1
	v_mov_b32_e32 v4, 0x80
	s_and_saveexec_b64 s[20:21], vcc
	s_cbranch_execz .LBB18_351
; %bb.346:
	s_mov_b32 s24, 0x37ffffff
	v_cmp_lt_u32_e32 vcc, s24, v1
	s_mov_b64 s[24:25], 0
                                        ; implicit-def: $vgpr1
	s_and_saveexec_b64 s[26:27], vcc
	s_xor_b64 s[26:27], exec, s[26:27]
	s_cbranch_execz .LBB18_553
; %bb.347:
	v_bfe_u32 v1, v0, 21, 1
	s_mov_b32 s30, 0x88fffff
	v_add3_u32 v1, v0, v1, s30
	s_mov_b64 s[24:25], exec
	v_lshrrev_b32_e32 v1, 21, v1
	s_andn2_saveexec_b64 s[26:27], s[26:27]
	s_cbranch_execnz .LBB18_554
.LBB18_348:
	s_or_b64 exec, exec, s[26:27]
	v_mov_b32_e32 v4, 0
	s_and_saveexec_b64 s[26:27], s[24:25]
.LBB18_349:
	v_lshrrev_b32_e32 v4, 24, v0
	s_movk_i32 s24, 0x80
	v_and_or_b32 v4, v4, s24, v1
.LBB18_350:
	s_or_b64 exec, exec, s[26:27]
.LBB18_351:
	s_or_b64 exec, exec, s[20:21]
	s_mov_b64 s[20:21], 0
	global_store_byte v[2:3], v4, off
.LBB18_352:
	s_and_b64 vcc, exec, s[20:21]
	s_cbranch_vccz .LBB18_362
; %bb.353:
	v_and_b32_e32 v4, 0x7fffffff, v0
	s_mov_b32 s20, 0x43f00000
	v_cmp_gt_u32_e32 vcc, s20, v4
                                        ; implicit-def: $vgpr1
	s_and_saveexec_b64 s[20:21], vcc
	s_xor_b64 s[20:21], exec, s[20:21]
	s_cbranch_execz .LBB18_359
; %bb.354:
	s_mov_b32 s24, 0x3c7fffff
	v_cmp_lt_u32_e32 vcc, s24, v4
                                        ; implicit-def: $vgpr1
	s_and_saveexec_b64 s[24:25], vcc
	s_xor_b64 s[24:25], exec, s[24:25]
; %bb.355:
	v_bfe_u32 v1, v0, 20, 1
	s_mov_b32 s26, 0x407ffff
	v_add3_u32 v1, v0, v1, s26
	v_lshrrev_b32_e32 v4, 20, v1
	v_and_b32_e32 v1, 0xff00000, v1
	s_mov_b32 s26, 0x7f00000
	v_mov_b32_e32 v5, 0x7e
	v_cmp_ne_u32_e32 vcc, s26, v1
	v_cndmask_b32_e32 v1, v5, v4, vcc
; %bb.356:
	s_andn2_saveexec_b64 s[24:25], s[24:25]
; %bb.357:
	s_mov_b32 s26, 0x46800000
	v_add_f32_e64 v1, |v0|, s26
; %bb.358:
	s_or_b64 exec, exec, s[24:25]
                                        ; implicit-def: $vgpr4
.LBB18_359:
	s_andn2_saveexec_b64 s[20:21], s[20:21]
; %bb.360:
	s_mov_b32 s24, 0x7f800000
	v_mov_b32_e32 v1, 0x7e
	v_mov_b32_e32 v5, 0x7f
	v_cmp_lt_u32_e32 vcc, s24, v4
	v_cndmask_b32_e32 v1, v1, v5, vcc
; %bb.361:
	s_or_b64 exec, exec, s[20:21]
	v_lshrrev_b32_e32 v4, 24, v0
	s_movk_i32 s20, 0x80
	v_and_or_b32 v1, v4, s20, v1
	global_store_byte v[2:3], v1, off
.LBB18_362:
	s_mov_b64 s[20:21], 0
.LBB18_363:
	s_andn2_b64 vcc, exec, s[20:21]
	s_cbranch_vccnz .LBB18_373
; %bb.364:
	v_and_b32_e32 v4, 0x7fffffff, v0
	s_mov_b32 s20, 0x47800000
	v_cmp_gt_u32_e32 vcc, s20, v4
                                        ; implicit-def: $vgpr1
	s_and_saveexec_b64 s[20:21], vcc
	s_xor_b64 s[20:21], exec, s[20:21]
	s_cbranch_execz .LBB18_370
; %bb.365:
	s_mov_b32 s24, 0x387fffff
	v_cmp_lt_u32_e32 vcc, s24, v4
                                        ; implicit-def: $vgpr1
	s_and_saveexec_b64 s[24:25], vcc
	s_xor_b64 s[24:25], exec, s[24:25]
; %bb.366:
	v_bfe_u32 v1, v0, 21, 1
	s_mov_b32 s26, 0x80fffff
	v_add3_u32 v1, v0, v1, s26
	v_lshrrev_b32_e32 v1, 21, v1
; %bb.367:
	s_andn2_saveexec_b64 s[24:25], s[24:25]
; %bb.368:
	s_mov_b32 s26, 0x43000000
	v_add_f32_e64 v1, |v0|, s26
; %bb.369:
	s_or_b64 exec, exec, s[24:25]
                                        ; implicit-def: $vgpr4
.LBB18_370:
	s_andn2_saveexec_b64 s[20:21], s[20:21]
; %bb.371:
	s_mov_b32 s24, 0x7f800000
	v_mov_b32_e32 v1, 0x7c
	v_mov_b32_e32 v5, 0x7f
	v_cmp_lt_u32_e32 vcc, s24, v4
	v_cndmask_b32_e32 v1, v1, v5, vcc
; %bb.372:
	s_or_b64 exec, exec, s[20:21]
	v_lshrrev_b32_e32 v4, 24, v0
	s_movk_i32 s20, 0x80
	v_and_or_b32 v1, v4, s20, v1
	global_store_byte v[2:3], v1, off
.LBB18_373:
	s_mov_b64 s[24:25], 0
	s_mov_b64 s[20:21], -1
.LBB18_374:
	s_andn2_b64 vcc, exec, s[24:25]
	s_cbranch_vccnz .LBB18_382
; %bb.375:
	s_cmp_gt_i32 s29, 14
	s_mov_b64 s[24:25], -1
	s_cbranch_scc0 .LBB18_379
; %bb.376:
	s_cmp_eq_u32 s29, 15
	s_mov_b64 s[0:1], -1
	s_cbranch_scc0 .LBB18_378
; %bb.377:
	v_bfe_u32 v1, v0, 16, 1
	s_movk_i32 s0, 0x7fff
	v_add3_u32 v1, v0, v1, s0
	v_cmp_o_f32_e32 vcc, v0, v0
	v_mov_b32_e32 v4, 0x7fc0
	v_cndmask_b32_sdwa v1, v4, v1, vcc dst_sel:DWORD dst_unused:UNUSED_PAD src0_sel:DWORD src1_sel:WORD_1
	global_store_short v[2:3], v1, off
	s_mov_b64 s[20:21], -1
	s_mov_b64 s[0:1], 0
.LBB18_378:
	s_mov_b64 s[24:25], 0
.LBB18_379:
	s_and_b64 vcc, exec, s[24:25]
	s_cbranch_vccz .LBB18_382
; %bb.380:
	s_cmp_eq_u32 s29, 11
	s_mov_b64 s[0:1], -1
	s_cbranch_scc0 .LBB18_382
; %bb.381:
	v_cmp_neq_f32_e32 vcc, 0, v0
	v_cndmask_b32_e64 v1, 0, 1, vcc
	s_mov_b64 s[20:21], -1
	s_mov_b64 s[0:1], 0
	global_store_byte v[2:3], v1, off
.LBB18_382:
	s_mov_b64 s[24:25], 0
.LBB18_383:
	s_and_b64 vcc, exec, s[24:25]
	s_cbranch_vccz .LBB18_422
; %bb.384:
	s_and_b32 s24, 0xffff, s28
	s_cmp_lt_i32 s24, 5
	s_mov_b64 s[20:21], -1
	s_cbranch_scc1 .LBB18_405
; %bb.385:
	s_cmp_lt_i32 s24, 8
	s_cbranch_scc1 .LBB18_395
; %bb.386:
	s_cmp_lt_i32 s24, 9
	s_cbranch_scc1 .LBB18_392
; %bb.387:
	s_cmp_gt_i32 s24, 9
	s_cbranch_scc0 .LBB18_389
; %bb.388:
	v_cvt_f64_f32_e32 v[8:9], v0
	v_mov_b32_e32 v10, 0
	v_mov_b32_e32 v11, v10
	s_mov_b64 s[20:21], 0
	global_store_dwordx4 v[2:3], v[8:11], off
.LBB18_389:
	s_andn2_b64 vcc, exec, s[20:21]
	s_cbranch_vccnz .LBB18_391
; %bb.390:
	v_mov_b32_e32 v1, 0
	global_store_dwordx2 v[2:3], v[0:1], off
.LBB18_391:
	s_mov_b64 s[20:21], 0
.LBB18_392:
	s_andn2_b64 vcc, exec, s[20:21]
	s_cbranch_vccnz .LBB18_394
; %bb.393:
	v_cvt_f16_f32_e32 v1, v0
	global_store_dword v[2:3], v1, off
.LBB18_394:
	s_mov_b64 s[20:21], 0
.LBB18_395:
	s_andn2_b64 vcc, exec, s[20:21]
	s_cbranch_vccnz .LBB18_404
; %bb.396:
	s_cmp_lt_i32 s24, 6
	s_mov_b64 s[20:21], -1
	s_cbranch_scc1 .LBB18_402
; %bb.397:
	s_cmp_gt_i32 s24, 6
	s_cbranch_scc0 .LBB18_399
; %bb.398:
	v_cvt_f64_f32_e32 v[4:5], v0
	s_mov_b64 s[20:21], 0
	global_store_dwordx2 v[2:3], v[4:5], off
.LBB18_399:
	s_andn2_b64 vcc, exec, s[20:21]
	s_cbranch_vccnz .LBB18_401
; %bb.400:
	global_store_dword v[2:3], v0, off
.LBB18_401:
	s_mov_b64 s[20:21], 0
.LBB18_402:
	s_andn2_b64 vcc, exec, s[20:21]
	s_cbranch_vccnz .LBB18_404
; %bb.403:
	v_cvt_f16_f32_e32 v1, v0
	global_store_short v[2:3], v1, off
.LBB18_404:
	s_mov_b64 s[20:21], 0
.LBB18_405:
	s_andn2_b64 vcc, exec, s[20:21]
	s_cbranch_vccnz .LBB18_421
; %bb.406:
	s_cmp_lt_i32 s24, 2
	s_mov_b64 s[20:21], -1
	s_cbranch_scc1 .LBB18_416
; %bb.407:
	s_cmp_lt_i32 s24, 3
	s_cbranch_scc1 .LBB18_413
; %bb.408:
	s_cmp_gt_i32 s24, 3
	s_cbranch_scc0 .LBB18_410
; %bb.409:
	v_trunc_f32_e32 v1, v0
	s_mov_b32 s20, 0x2f800000
	v_mul_f32_e64 v4, |v1|, s20
	v_floor_f32_e32 v4, v4
	s_mov_b32 s20, 0xcf800000
	v_cvt_u32_f32_e32 v5, v4
	v_fma_f32 v4, v4, s20, |v1|
	v_cvt_u32_f32_e32 v4, v4
	v_ashrrev_i32_e32 v1, 31, v1
	v_xor_b32_e32 v5, v5, v1
	s_mov_b64 s[20:21], 0
	v_xor_b32_e32 v4, v4, v1
	v_sub_co_u32_e32 v4, vcc, v4, v1
	v_subb_co_u32_e32 v5, vcc, v5, v1, vcc
	global_store_dwordx2 v[2:3], v[4:5], off
.LBB18_410:
	s_andn2_b64 vcc, exec, s[20:21]
	s_cbranch_vccnz .LBB18_412
; %bb.411:
	v_cvt_i32_f32_e32 v1, v0
	global_store_dword v[2:3], v1, off
.LBB18_412:
	s_mov_b64 s[20:21], 0
.LBB18_413:
	s_andn2_b64 vcc, exec, s[20:21]
	s_cbranch_vccnz .LBB18_415
; %bb.414:
	v_cvt_i32_f32_e32 v1, v0
	global_store_short v[2:3], v1, off
.LBB18_415:
	s_mov_b64 s[20:21], 0
.LBB18_416:
	s_andn2_b64 vcc, exec, s[20:21]
	s_cbranch_vccnz .LBB18_421
; %bb.417:
	s_cmp_gt_i32 s24, 0
	s_mov_b64 s[20:21], -1
	s_cbranch_scc0 .LBB18_419
; %bb.418:
	v_cvt_i32_f32_e32 v1, v0
	s_mov_b64 s[20:21], 0
	global_store_byte v[2:3], v1, off
.LBB18_419:
	s_andn2_b64 vcc, exec, s[20:21]
	s_cbranch_vccnz .LBB18_421
; %bb.420:
	v_trunc_f32_e32 v0, v0
	s_mov_b32 s20, 0x2f800000
	v_mul_f32_e64 v1, |v0|, s20
	v_floor_f32_e32 v1, v1
	s_mov_b32 s20, 0xcf800000
	v_fma_f32 v1, v1, s20, |v0|
	v_cvt_u32_f32_e32 v1, v1
	v_ashrrev_i32_e32 v0, 31, v0
	v_xor_b32_e32 v1, v1, v0
	v_sub_u32_e32 v0, v1, v0
	global_store_byte v[2:3], v0, off
.LBB18_421:
	s_mov_b64 s[20:21], -1
.LBB18_422:
	s_andn2_b64 vcc, exec, s[20:21]
	s_cbranch_vccnz .LBB18_424
; %bb.423:
	v_add_u32_e32 v7, 0x80, v7
	s_mov_b64 s[24:25], -1
	s_branch .LBB18_536
.LBB18_424:
	s_mov_b64 s[24:25], 0
                                        ; implicit-def: $vgpr7
	s_branch .LBB18_536
.LBB18_425:
	s_mov_b64 s[18:19], -1
                                        ; implicit-def: $vgpr2
.LBB18_426:
	s_mov_b64 s[20:21], 0
.LBB18_427:
	s_and_b64 vcc, exec, s[20:21]
	s_cbranch_vccz .LBB18_431
; %bb.428:
	s_cmp_eq_u32 s26, 29
	s_cbranch_scc0 .LBB18_430
; %bb.429:
	global_load_dwordx2 v[2:3], v[0:1], off
	s_mov_b64 s[0:1], -1
	s_mov_b64 s[18:19], 0
	s_mov_b64 s[20:21], 0
	s_waitcnt vmcnt(0)
	v_ffbh_u32_e32 v4, v3
	v_min_u32_e32 v4, 32, v4
	v_lshlrev_b64 v[2:3], v4, v[2:3]
	v_min_u32_e32 v2, 1, v2
	v_or_b32_e32 v2, v3, v2
	v_cvt_f32_u32_e32 v2, v2
	v_sub_u32_e32 v3, 32, v4
	v_ldexp_f32 v2, v2, v3
	s_branch .LBB18_432
.LBB18_430:
	s_mov_b64 s[18:19], -1
                                        ; implicit-def: $vgpr2
.LBB18_431:
	s_mov_b64 s[20:21], 0
.LBB18_432:
	s_and_b64 vcc, exec, s[20:21]
	s_cbranch_vccz .LBB18_450
; %bb.433:
	s_cmp_lt_i32 s26, 27
	s_cbranch_scc1 .LBB18_436
; %bb.434:
	s_cmp_gt_i32 s26, 27
	s_cbranch_scc0 .LBB18_437
; %bb.435:
	global_load_dword v2, v[0:1], off
	s_mov_b64 s[0:1], 0
	s_waitcnt vmcnt(0)
	v_cvt_f32_u32_e32 v2, v2
	s_branch .LBB18_438
.LBB18_436:
	s_mov_b64 s[0:1], -1
                                        ; implicit-def: $vgpr2
	s_branch .LBB18_441
.LBB18_437:
	s_mov_b64 s[0:1], -1
                                        ; implicit-def: $vgpr2
.LBB18_438:
	s_andn2_b64 vcc, exec, s[0:1]
	s_cbranch_vccnz .LBB18_440
; %bb.439:
	global_load_ushort v2, v[0:1], off
	s_waitcnt vmcnt(0)
	v_cvt_f32_u32_e32 v2, v2
.LBB18_440:
	s_mov_b64 s[0:1], 0
.LBB18_441:
	s_andn2_b64 vcc, exec, s[0:1]
	s_cbranch_vccnz .LBB18_449
; %bb.442:
	global_load_ubyte v3, v[0:1], off
	s_movk_i32 s0, 0x7f
	s_waitcnt vmcnt(0)
	v_cmp_lt_i16_e32 vcc, s0, v3
	s_mov_b64 s[0:1], 0
	s_and_saveexec_b64 s[20:21], vcc
	s_xor_b64 s[20:21], exec, s[20:21]
	s_cbranch_execz .LBB18_463
; %bb.443:
	s_movk_i32 s0, 0x80
	v_cmp_eq_u16_e32 vcc, s0, v3
	s_mov_b64 s[0:1], -1
	s_and_saveexec_b64 s[24:25], vcc
; %bb.444:
	s_xor_b64 s[0:1], exec, -1
; %bb.445:
	s_or_b64 exec, exec, s[24:25]
	s_and_b64 s[0:1], s[0:1], exec
	s_or_saveexec_b64 s[20:21], s[20:21]
	v_mov_b32_e32 v2, 0x7f800001
	s_xor_b64 exec, exec, s[20:21]
	s_cbranch_execnz .LBB18_464
.LBB18_446:
	s_or_b64 exec, exec, s[20:21]
	s_and_saveexec_b64 s[20:21], s[0:1]
	s_cbranch_execz .LBB18_448
.LBB18_447:
	v_lshlrev_b32_e32 v2, 24, v3
	v_and_b32_e32 v3, 0xffff, v3
	v_and_b32_e32 v4, 7, v3
	v_ffbh_u32_e32 v6, v4
	v_min_u32_e32 v6, 32, v6
	v_subrev_u32_e32 v8, 28, v6
	v_bfe_u32 v5, v3, 3, 4
	v_lshlrev_b32_e32 v3, v8, v3
	v_sub_u32_e32 v6, 29, v6
	v_and_b32_e32 v3, 7, v3
	v_cmp_eq_u32_e32 vcc, 0, v5
	v_cndmask_b32_e32 v5, v5, v6, vcc
	v_cndmask_b32_e32 v3, v4, v3, vcc
	v_mov_b32_e32 v4, 0x3b800000
	v_lshlrev_b32_e32 v3, 20, v3
	v_and_b32_e32 v2, 0x80000000, v2
	v_lshl_add_u32 v4, v5, 23, v4
	v_or3_b32 v2, v2, v4, v3
.LBB18_448:
	s_or_b64 exec, exec, s[20:21]
.LBB18_449:
	s_mov_b64 s[0:1], -1
.LBB18_450:
	s_mov_b64 s[20:21], 0
.LBB18_451:
	s_and_b64 vcc, exec, s[20:21]
	s_cbranch_vccz .LBB18_486
; %bb.452:
	s_cmp_gt_i32 s26, 22
	s_cbranch_scc0 .LBB18_462
; %bb.453:
	s_cmp_lt_i32 s26, 24
	s_cbranch_scc1 .LBB18_465
; %bb.454:
	s_cmp_gt_i32 s26, 24
	s_cbranch_scc0 .LBB18_466
; %bb.455:
	global_load_ubyte v3, v[0:1], off
	s_movk_i32 s0, 0x7f
	s_waitcnt vmcnt(0)
	v_cmp_lt_i16_e32 vcc, s0, v3
	s_mov_b64 s[0:1], 0
	s_and_saveexec_b64 s[20:21], vcc
	s_xor_b64 s[20:21], exec, s[20:21]
	s_cbranch_execz .LBB18_478
; %bb.456:
	s_movk_i32 s0, 0x80
	v_cmp_eq_u16_e32 vcc, s0, v3
	s_mov_b64 s[0:1], -1
	s_and_saveexec_b64 s[24:25], vcc
; %bb.457:
	s_xor_b64 s[0:1], exec, -1
; %bb.458:
	s_or_b64 exec, exec, s[24:25]
	s_and_b64 s[0:1], s[0:1], exec
	s_or_saveexec_b64 s[20:21], s[20:21]
	v_mov_b32_e32 v2, 0x7f800001
	s_xor_b64 exec, exec, s[20:21]
	s_cbranch_execnz .LBB18_479
.LBB18_459:
	s_or_b64 exec, exec, s[20:21]
	s_and_saveexec_b64 s[20:21], s[0:1]
	s_cbranch_execz .LBB18_461
.LBB18_460:
	v_lshlrev_b32_e32 v2, 24, v3
	v_and_b32_e32 v3, 0xffff, v3
	v_and_b32_e32 v4, 3, v3
	v_ffbh_u32_e32 v6, v4
	v_min_u32_e32 v6, 32, v6
	v_subrev_u32_e32 v8, 29, v6
	v_bfe_u32 v5, v3, 2, 5
	v_lshlrev_b32_e32 v3, v8, v3
	v_sub_u32_e32 v6, 30, v6
	v_and_b32_e32 v3, 3, v3
	v_cmp_eq_u32_e32 vcc, 0, v5
	v_cndmask_b32_e32 v5, v5, v6, vcc
	v_cndmask_b32_e32 v3, v4, v3, vcc
	v_mov_b32_e32 v4, 0x37800000
	v_lshlrev_b32_e32 v3, 21, v3
	v_and_b32_e32 v2, 0x80000000, v2
	v_lshl_add_u32 v4, v5, 23, v4
	v_or3_b32 v2, v2, v4, v3
.LBB18_461:
	s_or_b64 exec, exec, s[20:21]
	s_mov_b64 s[0:1], 0
	s_branch .LBB18_467
.LBB18_462:
	s_mov_b64 s[20:21], -1
                                        ; implicit-def: $vgpr2
	s_branch .LBB18_473
.LBB18_463:
	s_or_saveexec_b64 s[20:21], s[20:21]
	v_mov_b32_e32 v2, 0x7f800001
	s_xor_b64 exec, exec, s[20:21]
	s_cbranch_execz .LBB18_446
.LBB18_464:
	v_cmp_ne_u16_e32 vcc, 0, v3
	s_andn2_b64 s[0:1], s[0:1], exec
	s_and_b64 s[24:25], vcc, exec
	v_mov_b32_e32 v2, 0
	s_or_b64 s[0:1], s[0:1], s[24:25]
	s_or_b64 exec, exec, s[20:21]
	s_and_saveexec_b64 s[20:21], s[0:1]
	s_cbranch_execnz .LBB18_447
	s_branch .LBB18_448
.LBB18_465:
	s_mov_b64 s[0:1], -1
                                        ; implicit-def: $vgpr2
	s_branch .LBB18_470
.LBB18_466:
	s_mov_b64 s[0:1], -1
                                        ; implicit-def: $vgpr2
.LBB18_467:
	s_and_b64 vcc, exec, s[0:1]
	s_cbranch_vccz .LBB18_469
; %bb.468:
	global_load_ubyte v2, v[0:1], off
	s_mov_b32 s0, 0x7f800000
	s_waitcnt vmcnt(0)
	v_lshlrev_b32_e32 v2, 24, v2
	v_and_b32_e32 v3, 0x7f000000, v2
	v_ffbh_u32_e32 v4, v3
	v_min_u32_e32 v4, 32, v4
	v_sub_u32_e64 v4, v4, 4 clamp
	v_lshlrev_b32_e32 v6, v4, v3
	v_lshlrev_b32_e32 v4, 23, v4
	v_lshrrev_b32_e32 v6, 4, v6
	v_add_u32_e32 v5, 0x1000000, v3
	v_sub_u32_e32 v4, v6, v4
	v_ashrrev_i32_e32 v5, 8, v5
	v_add_u32_e32 v4, 0x3c000000, v4
	v_and_or_b32 v4, v5, s0, v4
	v_cmp_ne_u32_e32 vcc, 0, v3
	v_cndmask_b32_e32 v3, 0, v4, vcc
	s_brev_b32 s0, 1
	v_and_or_b32 v2, v2, s0, v3
.LBB18_469:
	s_mov_b64 s[0:1], 0
.LBB18_470:
	s_andn2_b64 vcc, exec, s[0:1]
	s_cbranch_vccnz .LBB18_472
; %bb.471:
	global_load_ubyte v2, v[0:1], off
	s_movk_i32 s0, 0x7f00
	s_brev_b32 s1, 16
	s_waitcnt vmcnt(0)
	v_lshlrev_b16_e32 v3, 8, v2
	v_lshlrev_b32_e32 v2, 25, v2
	v_lshrrev_b32_e32 v4, 4, v2
	v_and_or_b32 v5, v3, s0, 0.5
	v_or_b32_e32 v4, 0x70000000, v4
	v_add_f32_e32 v5, -0.5, v5
	v_mul_f32_e32 v4, 0x7800000, v4
	v_cmp_gt_u32_e32 vcc, s1, v2
	v_bfe_i32 v3, v3, 0, 16
	v_cndmask_b32_e32 v2, v4, v5, vcc
	s_brev_b32 s0, 1
	v_and_or_b32 v2, v3, s0, v2
.LBB18_472:
	s_mov_b64 s[20:21], 0
	s_mov_b64 s[0:1], -1
.LBB18_473:
	s_andn2_b64 vcc, exec, s[20:21]
	s_cbranch_vccnz .LBB18_486
; %bb.474:
	s_cmp_gt_i32 s26, 14
	s_cbranch_scc0 .LBB18_477
; %bb.475:
	s_cmp_eq_u32 s26, 15
	s_cbranch_scc0 .LBB18_480
; %bb.476:
	global_load_ushort v2, v[0:1], off
	s_mov_b64 s[0:1], -1
	s_mov_b64 s[18:19], 0
	s_waitcnt vmcnt(0)
	v_lshlrev_b32_e32 v2, 16, v2
	s_branch .LBB18_481
.LBB18_477:
	s_mov_b64 s[20:21], -1
                                        ; implicit-def: $vgpr2
	s_branch .LBB18_482
.LBB18_478:
	s_or_saveexec_b64 s[20:21], s[20:21]
	v_mov_b32_e32 v2, 0x7f800001
	s_xor_b64 exec, exec, s[20:21]
	s_cbranch_execz .LBB18_459
.LBB18_479:
	v_cmp_ne_u16_e32 vcc, 0, v3
	s_andn2_b64 s[0:1], s[0:1], exec
	s_and_b64 s[24:25], vcc, exec
	v_mov_b32_e32 v2, 0
	s_or_b64 s[0:1], s[0:1], s[24:25]
	s_or_b64 exec, exec, s[20:21]
	s_and_saveexec_b64 s[20:21], s[0:1]
	s_cbranch_execnz .LBB18_460
	s_branch .LBB18_461
.LBB18_480:
	s_mov_b64 s[18:19], -1
                                        ; implicit-def: $vgpr2
.LBB18_481:
	s_mov_b64 s[20:21], 0
.LBB18_482:
	s_and_b64 vcc, exec, s[20:21]
	s_cbranch_vccz .LBB18_486
; %bb.483:
	s_cmp_eq_u32 s26, 11
	s_cbranch_scc0 .LBB18_485
; %bb.484:
	global_load_ubyte v2, v[0:1], off
	s_mov_b64 s[0:1], -1
	s_mov_b64 s[18:19], 0
	s_waitcnt vmcnt(0)
	v_cmp_ne_u16_e32 vcc, 0, v2
	v_cndmask_b32_e64 v2, 0, 1.0, vcc
	s_branch .LBB18_486
.LBB18_485:
	s_mov_b64 s[18:19], -1
                                        ; implicit-def: $vgpr2
.LBB18_486:
	s_branch .LBB18_277
.LBB18_487:
	s_cmp_lt_i32 s26, 5
	s_cbranch_scc1 .LBB18_492
; %bb.488:
	s_cmp_lt_i32 s26, 8
	s_cbranch_scc1 .LBB18_493
; %bb.489:
	;; [unrolled: 3-line block ×3, first 2 shown]
	s_cmp_gt_i32 s26, 9
	s_cbranch_scc0 .LBB18_495
; %bb.491:
	global_load_dwordx2 v[2:3], v[0:1], off
	s_mov_b64 s[0:1], 0
	s_waitcnt vmcnt(0)
	v_cvt_f32_f64_e32 v2, v[2:3]
	s_branch .LBB18_496
.LBB18_492:
	s_mov_b64 s[0:1], -1
                                        ; implicit-def: $vgpr2
	s_branch .LBB18_514
.LBB18_493:
	s_mov_b64 s[0:1], -1
                                        ; implicit-def: $vgpr2
	s_branch .LBB18_502
.LBB18_494:
	s_mov_b64 s[0:1], -1
                                        ; implicit-def: $vgpr2
	s_branch .LBB18_499
.LBB18_495:
	s_mov_b64 s[0:1], -1
                                        ; implicit-def: $vgpr2
.LBB18_496:
	s_andn2_b64 vcc, exec, s[0:1]
	s_cbranch_vccnz .LBB18_498
; %bb.497:
	global_load_dword v2, v[0:1], off
.LBB18_498:
	s_mov_b64 s[0:1], 0
.LBB18_499:
	s_andn2_b64 vcc, exec, s[0:1]
	s_cbranch_vccnz .LBB18_501
; %bb.500:
	global_load_dword v2, v[0:1], off
	s_waitcnt vmcnt(0)
	v_cvt_f32_f16_e32 v2, v2
.LBB18_501:
	s_mov_b64 s[0:1], 0
.LBB18_502:
	s_andn2_b64 vcc, exec, s[0:1]
	s_cbranch_vccnz .LBB18_513
; %bb.503:
	s_cmp_lt_i32 s26, 6
	s_cbranch_scc1 .LBB18_506
; %bb.504:
	s_cmp_gt_i32 s26, 6
	s_cbranch_scc0 .LBB18_507
; %bb.505:
	global_load_dwordx2 v[2:3], v[0:1], off
	s_mov_b64 s[0:1], 0
	s_waitcnt vmcnt(0)
	v_cvt_f32_f64_e32 v2, v[2:3]
	s_branch .LBB18_508
.LBB18_506:
	s_mov_b64 s[0:1], -1
                                        ; implicit-def: $vgpr2
	s_branch .LBB18_511
.LBB18_507:
	s_mov_b64 s[0:1], -1
                                        ; implicit-def: $vgpr2
.LBB18_508:
	s_andn2_b64 vcc, exec, s[0:1]
	s_cbranch_vccnz .LBB18_510
; %bb.509:
	global_load_dword v2, v[0:1], off
.LBB18_510:
	s_mov_b64 s[0:1], 0
.LBB18_511:
	s_andn2_b64 vcc, exec, s[0:1]
	s_cbranch_vccnz .LBB18_513
; %bb.512:
	global_load_ushort v2, v[0:1], off
	s_waitcnt vmcnt(0)
	v_cvt_f32_f16_e32 v2, v2
.LBB18_513:
	s_mov_b64 s[0:1], 0
.LBB18_514:
	s_andn2_b64 vcc, exec, s[0:1]
	s_cbranch_vccnz .LBB18_534
; %bb.515:
	s_cmp_lt_i32 s26, 2
	s_cbranch_scc1 .LBB18_519
; %bb.516:
	s_cmp_lt_i32 s26, 3
	s_cbranch_scc1 .LBB18_520
; %bb.517:
	s_cmp_gt_i32 s26, 3
	s_cbranch_scc0 .LBB18_521
; %bb.518:
	global_load_dwordx2 v[2:3], v[0:1], off
	s_mov_b64 s[0:1], 0
	s_waitcnt vmcnt(0)
	v_xor_b32_e32 v5, v2, v3
	v_ffbh_i32_e32 v4, v3
	v_ashrrev_i32_e32 v5, 31, v5
	v_add_u32_e32 v4, -1, v4
	v_add_u32_e32 v5, 32, v5
	v_min_u32_e32 v4, v4, v5
	v_lshlrev_b64 v[2:3], v4, v[2:3]
	v_min_u32_e32 v2, 1, v2
	v_or_b32_e32 v2, v3, v2
	v_cvt_f32_i32_e32 v2, v2
	v_sub_u32_e32 v3, 32, v4
	v_ldexp_f32 v2, v2, v3
	s_branch .LBB18_522
.LBB18_519:
	s_mov_b64 s[0:1], -1
                                        ; implicit-def: $vgpr2
	s_branch .LBB18_528
.LBB18_520:
	s_mov_b64 s[0:1], -1
                                        ; implicit-def: $vgpr2
	s_branch .LBB18_525
.LBB18_521:
	s_mov_b64 s[0:1], -1
                                        ; implicit-def: $vgpr2
.LBB18_522:
	s_andn2_b64 vcc, exec, s[0:1]
	s_cbranch_vccnz .LBB18_524
; %bb.523:
	global_load_dword v2, v[0:1], off
	s_waitcnt vmcnt(0)
	v_cvt_f32_i32_e32 v2, v2
.LBB18_524:
	s_mov_b64 s[0:1], 0
.LBB18_525:
	s_andn2_b64 vcc, exec, s[0:1]
	s_cbranch_vccnz .LBB18_527
; %bb.526:
	global_load_sshort v2, v[0:1], off
	s_waitcnt vmcnt(0)
	v_cvt_f32_i32_e32 v2, v2
.LBB18_527:
	s_mov_b64 s[0:1], 0
.LBB18_528:
	s_andn2_b64 vcc, exec, s[0:1]
	s_cbranch_vccnz .LBB18_534
; %bb.529:
	s_cmp_gt_i32 s26, 0
	s_cbranch_scc0 .LBB18_531
; %bb.530:
	global_load_sbyte v2, v[0:1], off
	s_mov_b64 s[0:1], 0
	s_waitcnt vmcnt(0)
	v_cvt_f32_i32_e32 v2, v2
	s_branch .LBB18_532
.LBB18_531:
	s_mov_b64 s[0:1], -1
                                        ; implicit-def: $vgpr2
.LBB18_532:
	s_andn2_b64 vcc, exec, s[0:1]
	s_cbranch_vccnz .LBB18_534
; %bb.533:
	global_load_ubyte v0, v[0:1], off
	s_waitcnt vmcnt(0)
	v_cvt_f32_ubyte0_e32 v2, v0
.LBB18_534:
	s_branch .LBB18_278
.LBB18_535:
	s_mov_b64 s[24:25], 0
                                        ; implicit-def: $vgpr7
	s_mov_b64 s[0:1], s[6:7]
.LBB18_536:
	s_andn2_b64 s[20:21], s[6:7], exec
	s_and_b64 s[0:1], s[0:1], exec
	s_or_b64 s[20:21], s[20:21], s[0:1]
	s_andn2_b64 s[0:1], s[14:15], exec
	s_and_b64 s[18:19], s[18:19], exec
	s_or_b64 s[18:19], s[0:1], s[18:19]
	s_orn2_b64 s[0:1], s[24:25], exec
.LBB18_537:
	s_or_b64 exec, exec, s[22:23]
	s_mov_b64 s[24:25], 0
	s_mov_b64 s[26:27], 0
	;; [unrolled: 1-line block ×3, first 2 shown]
                                        ; implicit-def: $vgpr0_vgpr1
                                        ; implicit-def: $vgpr4
	s_and_saveexec_b64 s[22:23], s[0:1]
	s_cbranch_execz .LBB18_894
; %bb.538:
	v_cmp_gt_i32_e32 vcc, s38, v7
	s_mov_b64 s[34:35], -1
	s_mov_b64 s[0:1], s[18:19]
	s_mov_b64 s[28:29], s[20:21]
	s_and_saveexec_b64 s[24:25], vcc
	s_cbranch_execz .LBB18_808
; %bb.539:
	v_mul_lo_u32 v0, v7, s3
	v_mov_b32_e32 v1, s11
	s_and_b32 s34, 0xffff, s42
	s_cmp_lt_i32 s34, 11
	s_waitcnt vmcnt(0)
	v_ashrrev_i32_e32 v2, 31, v0
	v_add_co_u32_e32 v0, vcc, s10, v0
	v_addc_co_u32_e32 v1, vcc, v1, v2, vcc
	s_cbranch_scc1 .LBB18_546
; %bb.540:
	s_cmp_gt_i32 s34, 25
	s_cbranch_scc0 .LBB18_547
; %bb.541:
	s_cmp_gt_i32 s34, 28
	s_cbranch_scc0 .LBB18_548
	;; [unrolled: 3-line block ×4, first 2 shown]
; %bb.544:
	s_cmp_eq_u32 s34, 46
	s_mov_b64 s[28:29], 0
	s_cbranch_scc0 .LBB18_555
; %bb.545:
	global_load_dword v2, v[0:1], off
	s_mov_b64 s[0:1], -1
	s_waitcnt vmcnt(0)
	v_lshlrev_b32_e32 v2, 16, v2
	s_branch .LBB18_556
.LBB18_546:
	s_mov_b64 s[28:29], -1
	s_mov_b64 s[0:1], 0
                                        ; implicit-def: $vgpr2
	s_mov_b64 s[26:27], s[18:19]
	s_branch .LBB18_621
.LBB18_547:
	s_mov_b64 s[28:29], -1
	s_mov_b64 s[0:1], 0
	s_mov_b64 s[26:27], s[18:19]
                                        ; implicit-def: $vgpr2
	s_branch .LBB18_585
.LBB18_548:
	s_mov_b64 s[28:29], -1
	s_mov_b64 s[0:1], 0
	s_mov_b64 s[26:27], s[18:19]
                                        ; implicit-def: $vgpr2
	s_branch .LBB18_566
.LBB18_549:
	s_mov_b64 s[28:29], -1
	s_mov_b64 s[0:1], 0
	s_mov_b64 s[26:27], s[18:19]
                                        ; implicit-def: $vgpr2
	s_branch .LBB18_561
.LBB18_550:
	s_andn2_saveexec_b64 s[26:27], s[26:27]
	s_cbranch_execz .LBB18_335
.LBB18_551:
	s_mov_b32 s30, 0x46000000
	v_add_f32_e64 v1, |v0|, s30
	v_and_b32_e32 v1, 0xff, v1
	v_cmp_ne_u32_e32 vcc, 0, v1
	s_andn2_b64 s[24:25], s[24:25], exec
	s_and_b64 s[30:31], vcc, exec
	s_or_b64 s[24:25], s[24:25], s[30:31]
	s_or_b64 exec, exec, s[26:27]
	v_mov_b32_e32 v4, 0
	s_and_saveexec_b64 s[26:27], s[24:25]
	s_cbranch_execnz .LBB18_336
	s_branch .LBB18_337
.LBB18_552:
	s_mov_b64 s[28:29], -1
	s_mov_b64 s[0:1], 0
	s_mov_b64 s[26:27], s[18:19]
                                        ; implicit-def: $vgpr2
	s_branch .LBB18_556
.LBB18_553:
	s_andn2_saveexec_b64 s[26:27], s[26:27]
	s_cbranch_execz .LBB18_348
.LBB18_554:
	s_mov_b32 s30, 0x42800000
	v_add_f32_e64 v1, |v0|, s30
	v_and_b32_e32 v1, 0xff, v1
	v_cmp_ne_u32_e32 vcc, 0, v1
	s_andn2_b64 s[24:25], s[24:25], exec
	s_and_b64 s[30:31], vcc, exec
	s_or_b64 s[24:25], s[24:25], s[30:31]
	s_or_b64 exec, exec, s[26:27]
	v_mov_b32_e32 v4, 0
	s_and_saveexec_b64 s[26:27], s[24:25]
	s_cbranch_execnz .LBB18_349
	s_branch .LBB18_350
.LBB18_555:
	s_mov_b64 s[26:27], -1
                                        ; implicit-def: $vgpr2
	s_mov_b64 s[0:1], 0
.LBB18_556:
	s_and_b64 vcc, exec, s[28:29]
	s_cbranch_vccz .LBB18_560
; %bb.557:
	s_cmp_eq_u32 s34, 44
	s_cbranch_scc0 .LBB18_559
; %bb.558:
	global_load_ubyte v2, v[0:1], off
	s_movk_i32 s26, 0xff
	v_mov_b32_e32 v3, 0x7f800001
	v_mov_b32_e32 v4, 0x400000
	s_mov_b64 s[0:1], -1
	s_waitcnt vmcnt(0)
	v_lshlrev_b32_e32 v5, 23, v2
	v_cmp_ne_u32_e32 vcc, s26, v2
	v_cndmask_b32_e32 v3, v3, v5, vcc
	v_cmp_ne_u32_e32 vcc, 0, v2
	v_cndmask_b32_e32 v2, v4, v3, vcc
	s_mov_b64 s[26:27], 0
	s_branch .LBB18_560
.LBB18_559:
	s_mov_b64 s[26:27], -1
                                        ; implicit-def: $vgpr2
.LBB18_560:
	s_mov_b64 s[28:29], 0
.LBB18_561:
	s_and_b64 vcc, exec, s[28:29]
	s_cbranch_vccz .LBB18_565
; %bb.562:
	s_cmp_eq_u32 s34, 29
	s_cbranch_scc0 .LBB18_564
; %bb.563:
	global_load_dwordx2 v[2:3], v[0:1], off
	s_mov_b64 s[0:1], -1
	s_mov_b64 s[26:27], 0
	s_mov_b64 s[28:29], 0
	s_waitcnt vmcnt(0)
	v_ffbh_u32_e32 v4, v3
	v_min_u32_e32 v4, 32, v4
	v_lshlrev_b64 v[2:3], v4, v[2:3]
	v_min_u32_e32 v2, 1, v2
	v_or_b32_e32 v2, v3, v2
	v_cvt_f32_u32_e32 v2, v2
	v_sub_u32_e32 v3, 32, v4
	v_ldexp_f32 v2, v2, v3
	s_branch .LBB18_566
.LBB18_564:
	s_mov_b64 s[26:27], -1
                                        ; implicit-def: $vgpr2
.LBB18_565:
	s_mov_b64 s[28:29], 0
.LBB18_566:
	s_and_b64 vcc, exec, s[28:29]
	s_cbranch_vccz .LBB18_584
; %bb.567:
	s_cmp_lt_i32 s34, 27
	s_cbranch_scc1 .LBB18_570
; %bb.568:
	s_cmp_gt_i32 s34, 27
	s_cbranch_scc0 .LBB18_571
; %bb.569:
	global_load_dword v2, v[0:1], off
	s_mov_b64 s[0:1], 0
	s_waitcnt vmcnt(0)
	v_cvt_f32_u32_e32 v2, v2
	s_branch .LBB18_572
.LBB18_570:
	s_mov_b64 s[0:1], -1
                                        ; implicit-def: $vgpr2
	s_branch .LBB18_575
.LBB18_571:
	s_mov_b64 s[0:1], -1
                                        ; implicit-def: $vgpr2
.LBB18_572:
	s_andn2_b64 vcc, exec, s[0:1]
	s_cbranch_vccnz .LBB18_574
; %bb.573:
	global_load_ushort v2, v[0:1], off
	s_waitcnt vmcnt(0)
	v_cvt_f32_u32_e32 v2, v2
.LBB18_574:
	s_mov_b64 s[0:1], 0
.LBB18_575:
	s_andn2_b64 vcc, exec, s[0:1]
	s_cbranch_vccnz .LBB18_583
; %bb.576:
	global_load_ubyte v3, v[0:1], off
	s_movk_i32 s0, 0x7f
	s_waitcnt vmcnt(0)
	v_cmp_lt_i16_e32 vcc, s0, v3
	s_mov_b64 s[0:1], 0
	s_and_saveexec_b64 s[28:29], vcc
	s_xor_b64 s[28:29], exec, s[28:29]
	s_cbranch_execz .LBB18_597
; %bb.577:
	s_movk_i32 s0, 0x80
	v_cmp_eq_u16_e32 vcc, s0, v3
	s_mov_b64 s[0:1], -1
	s_and_saveexec_b64 s[30:31], vcc
; %bb.578:
	s_xor_b64 s[0:1], exec, -1
; %bb.579:
	s_or_b64 exec, exec, s[30:31]
	s_and_b64 s[0:1], s[0:1], exec
	s_or_saveexec_b64 s[28:29], s[28:29]
	v_mov_b32_e32 v2, 0x7f800001
	s_xor_b64 exec, exec, s[28:29]
	s_cbranch_execnz .LBB18_598
.LBB18_580:
	s_or_b64 exec, exec, s[28:29]
	s_and_saveexec_b64 s[28:29], s[0:1]
	s_cbranch_execz .LBB18_582
.LBB18_581:
	v_lshlrev_b32_e32 v2, 24, v3
	v_and_b32_e32 v3, 0xffff, v3
	v_and_b32_e32 v4, 7, v3
	v_ffbh_u32_e32 v6, v4
	v_min_u32_e32 v6, 32, v6
	v_subrev_u32_e32 v8, 28, v6
	v_bfe_u32 v5, v3, 3, 4
	v_lshlrev_b32_e32 v3, v8, v3
	v_sub_u32_e32 v6, 29, v6
	v_and_b32_e32 v3, 7, v3
	v_cmp_eq_u32_e32 vcc, 0, v5
	v_cndmask_b32_e32 v5, v5, v6, vcc
	v_cndmask_b32_e32 v3, v4, v3, vcc
	v_mov_b32_e32 v4, 0x3b800000
	v_lshlrev_b32_e32 v3, 20, v3
	v_and_b32_e32 v2, 0x80000000, v2
	v_lshl_add_u32 v4, v5, 23, v4
	v_or3_b32 v2, v2, v4, v3
.LBB18_582:
	s_or_b64 exec, exec, s[28:29]
.LBB18_583:
	s_mov_b64 s[0:1], -1
.LBB18_584:
	s_mov_b64 s[28:29], 0
.LBB18_585:
	s_and_b64 vcc, exec, s[28:29]
	s_cbranch_vccz .LBB18_620
; %bb.586:
	s_cmp_gt_i32 s34, 22
	s_cbranch_scc0 .LBB18_596
; %bb.587:
	s_cmp_lt_i32 s34, 24
	s_cbranch_scc1 .LBB18_599
; %bb.588:
	s_cmp_gt_i32 s34, 24
	s_cbranch_scc0 .LBB18_600
; %bb.589:
	global_load_ubyte v3, v[0:1], off
	s_movk_i32 s0, 0x7f
	s_waitcnt vmcnt(0)
	v_cmp_lt_i16_e32 vcc, s0, v3
	s_mov_b64 s[0:1], 0
	s_and_saveexec_b64 s[28:29], vcc
	s_xor_b64 s[28:29], exec, s[28:29]
	s_cbranch_execz .LBB18_612
; %bb.590:
	s_movk_i32 s0, 0x80
	v_cmp_eq_u16_e32 vcc, s0, v3
	s_mov_b64 s[0:1], -1
	s_and_saveexec_b64 s[30:31], vcc
; %bb.591:
	s_xor_b64 s[0:1], exec, -1
; %bb.592:
	s_or_b64 exec, exec, s[30:31]
	s_and_b64 s[0:1], s[0:1], exec
	s_or_saveexec_b64 s[28:29], s[28:29]
	v_mov_b32_e32 v2, 0x7f800001
	s_xor_b64 exec, exec, s[28:29]
	s_cbranch_execnz .LBB18_613
.LBB18_593:
	s_or_b64 exec, exec, s[28:29]
	s_and_saveexec_b64 s[28:29], s[0:1]
	s_cbranch_execz .LBB18_595
.LBB18_594:
	v_lshlrev_b32_e32 v2, 24, v3
	v_and_b32_e32 v3, 0xffff, v3
	v_and_b32_e32 v4, 3, v3
	v_ffbh_u32_e32 v6, v4
	v_min_u32_e32 v6, 32, v6
	v_subrev_u32_e32 v8, 29, v6
	v_bfe_u32 v5, v3, 2, 5
	v_lshlrev_b32_e32 v3, v8, v3
	v_sub_u32_e32 v6, 30, v6
	v_and_b32_e32 v3, 3, v3
	v_cmp_eq_u32_e32 vcc, 0, v5
	v_cndmask_b32_e32 v5, v5, v6, vcc
	v_cndmask_b32_e32 v3, v4, v3, vcc
	v_mov_b32_e32 v4, 0x37800000
	v_lshlrev_b32_e32 v3, 21, v3
	v_and_b32_e32 v2, 0x80000000, v2
	v_lshl_add_u32 v4, v5, 23, v4
	v_or3_b32 v2, v2, v4, v3
.LBB18_595:
	s_or_b64 exec, exec, s[28:29]
	s_mov_b64 s[0:1], 0
	s_branch .LBB18_601
.LBB18_596:
	s_mov_b64 s[28:29], -1
                                        ; implicit-def: $vgpr2
	s_branch .LBB18_607
.LBB18_597:
	s_or_saveexec_b64 s[28:29], s[28:29]
	v_mov_b32_e32 v2, 0x7f800001
	s_xor_b64 exec, exec, s[28:29]
	s_cbranch_execz .LBB18_580
.LBB18_598:
	v_cmp_ne_u16_e32 vcc, 0, v3
	s_andn2_b64 s[0:1], s[0:1], exec
	s_and_b64 s[30:31], vcc, exec
	v_mov_b32_e32 v2, 0
	s_or_b64 s[0:1], s[0:1], s[30:31]
	s_or_b64 exec, exec, s[28:29]
	s_and_saveexec_b64 s[28:29], s[0:1]
	s_cbranch_execnz .LBB18_581
	s_branch .LBB18_582
.LBB18_599:
	s_mov_b64 s[0:1], -1
                                        ; implicit-def: $vgpr2
	s_branch .LBB18_604
.LBB18_600:
	s_mov_b64 s[0:1], -1
                                        ; implicit-def: $vgpr2
.LBB18_601:
	s_and_b64 vcc, exec, s[0:1]
	s_cbranch_vccz .LBB18_603
; %bb.602:
	global_load_ubyte v2, v[0:1], off
	s_mov_b32 s0, 0x7f800000
	s_waitcnt vmcnt(0)
	v_lshlrev_b32_e32 v2, 24, v2
	v_and_b32_e32 v3, 0x7f000000, v2
	v_ffbh_u32_e32 v4, v3
	v_min_u32_e32 v4, 32, v4
	v_sub_u32_e64 v4, v4, 4 clamp
	v_lshlrev_b32_e32 v6, v4, v3
	v_lshlrev_b32_e32 v4, 23, v4
	v_lshrrev_b32_e32 v6, 4, v6
	v_add_u32_e32 v5, 0x1000000, v3
	v_sub_u32_e32 v4, v6, v4
	v_ashrrev_i32_e32 v5, 8, v5
	v_add_u32_e32 v4, 0x3c000000, v4
	v_and_or_b32 v4, v5, s0, v4
	v_cmp_ne_u32_e32 vcc, 0, v3
	v_cndmask_b32_e32 v3, 0, v4, vcc
	s_brev_b32 s0, 1
	v_and_or_b32 v2, v2, s0, v3
.LBB18_603:
	s_mov_b64 s[0:1], 0
.LBB18_604:
	s_andn2_b64 vcc, exec, s[0:1]
	s_cbranch_vccnz .LBB18_606
; %bb.605:
	global_load_ubyte v2, v[0:1], off
	s_movk_i32 s0, 0x7f00
	s_brev_b32 s1, 16
	s_waitcnt vmcnt(0)
	v_lshlrev_b16_e32 v3, 8, v2
	v_lshlrev_b32_e32 v2, 25, v2
	v_lshrrev_b32_e32 v4, 4, v2
	v_and_or_b32 v5, v3, s0, 0.5
	v_or_b32_e32 v4, 0x70000000, v4
	v_add_f32_e32 v5, -0.5, v5
	v_mul_f32_e32 v4, 0x7800000, v4
	v_cmp_gt_u32_e32 vcc, s1, v2
	v_bfe_i32 v3, v3, 0, 16
	v_cndmask_b32_e32 v2, v4, v5, vcc
	s_brev_b32 s0, 1
	v_and_or_b32 v2, v3, s0, v2
.LBB18_606:
	s_mov_b64 s[28:29], 0
	s_mov_b64 s[0:1], -1
.LBB18_607:
	s_andn2_b64 vcc, exec, s[28:29]
	s_cbranch_vccnz .LBB18_620
; %bb.608:
	s_cmp_gt_i32 s34, 14
	s_cbranch_scc0 .LBB18_611
; %bb.609:
	s_cmp_eq_u32 s34, 15
	s_cbranch_scc0 .LBB18_614
; %bb.610:
	global_load_ushort v2, v[0:1], off
	s_mov_b64 s[0:1], -1
	s_mov_b64 s[26:27], 0
	s_waitcnt vmcnt(0)
	v_lshlrev_b32_e32 v2, 16, v2
	s_branch .LBB18_615
.LBB18_611:
	s_mov_b64 s[28:29], -1
                                        ; implicit-def: $vgpr2
	s_branch .LBB18_616
.LBB18_612:
	s_or_saveexec_b64 s[28:29], s[28:29]
	v_mov_b32_e32 v2, 0x7f800001
	s_xor_b64 exec, exec, s[28:29]
	s_cbranch_execz .LBB18_593
.LBB18_613:
	v_cmp_ne_u16_e32 vcc, 0, v3
	s_andn2_b64 s[0:1], s[0:1], exec
	s_and_b64 s[30:31], vcc, exec
	v_mov_b32_e32 v2, 0
	s_or_b64 s[0:1], s[0:1], s[30:31]
	s_or_b64 exec, exec, s[28:29]
	s_and_saveexec_b64 s[28:29], s[0:1]
	s_cbranch_execnz .LBB18_594
	s_branch .LBB18_595
.LBB18_614:
	s_mov_b64 s[26:27], -1
                                        ; implicit-def: $vgpr2
.LBB18_615:
	s_mov_b64 s[28:29], 0
.LBB18_616:
	s_and_b64 vcc, exec, s[28:29]
	s_cbranch_vccz .LBB18_620
; %bb.617:
	s_cmp_eq_u32 s34, 11
	s_cbranch_scc0 .LBB18_619
; %bb.618:
	global_load_ubyte v2, v[0:1], off
	s_mov_b64 s[0:1], -1
	s_mov_b64 s[26:27], 0
	s_waitcnt vmcnt(0)
	v_cmp_ne_u16_e32 vcc, 0, v2
	v_cndmask_b32_e64 v2, 0, 1.0, vcc
	s_branch .LBB18_620
.LBB18_619:
	s_mov_b64 s[26:27], -1
                                        ; implicit-def: $vgpr2
.LBB18_620:
	s_mov_b64 s[28:29], 0
.LBB18_621:
	s_and_b64 vcc, exec, s[28:29]
	s_cbranch_vccz .LBB18_670
; %bb.622:
	s_cmp_lt_i32 s34, 5
	s_cbranch_scc1 .LBB18_627
; %bb.623:
	s_cmp_lt_i32 s34, 8
	s_cbranch_scc1 .LBB18_628
	;; [unrolled: 3-line block ×3, first 2 shown]
; %bb.625:
	s_cmp_gt_i32 s34, 9
	s_cbranch_scc0 .LBB18_630
; %bb.626:
	global_load_dwordx2 v[2:3], v[0:1], off
	s_mov_b64 s[0:1], 0
	s_waitcnt vmcnt(0)
	v_cvt_f32_f64_e32 v2, v[2:3]
	s_branch .LBB18_631
.LBB18_627:
	s_mov_b64 s[0:1], -1
                                        ; implicit-def: $vgpr2
	s_branch .LBB18_649
.LBB18_628:
	s_mov_b64 s[0:1], -1
                                        ; implicit-def: $vgpr2
	s_branch .LBB18_637
.LBB18_629:
	s_mov_b64 s[0:1], -1
                                        ; implicit-def: $vgpr2
	s_branch .LBB18_634
.LBB18_630:
	s_mov_b64 s[0:1], -1
                                        ; implicit-def: $vgpr2
.LBB18_631:
	s_andn2_b64 vcc, exec, s[0:1]
	s_cbranch_vccnz .LBB18_633
; %bb.632:
	global_load_dword v2, v[0:1], off
.LBB18_633:
	s_mov_b64 s[0:1], 0
.LBB18_634:
	s_andn2_b64 vcc, exec, s[0:1]
	s_cbranch_vccnz .LBB18_636
; %bb.635:
	global_load_dword v2, v[0:1], off
	s_waitcnt vmcnt(0)
	v_cvt_f32_f16_e32 v2, v2
.LBB18_636:
	s_mov_b64 s[0:1], 0
.LBB18_637:
	s_andn2_b64 vcc, exec, s[0:1]
	s_cbranch_vccnz .LBB18_648
; %bb.638:
	s_cmp_lt_i32 s34, 6
	s_cbranch_scc1 .LBB18_641
; %bb.639:
	s_cmp_gt_i32 s34, 6
	s_cbranch_scc0 .LBB18_642
; %bb.640:
	global_load_dwordx2 v[2:3], v[0:1], off
	s_mov_b64 s[0:1], 0
	s_waitcnt vmcnt(0)
	v_cvt_f32_f64_e32 v2, v[2:3]
	s_branch .LBB18_643
.LBB18_641:
	s_mov_b64 s[0:1], -1
                                        ; implicit-def: $vgpr2
	s_branch .LBB18_646
.LBB18_642:
	s_mov_b64 s[0:1], -1
                                        ; implicit-def: $vgpr2
.LBB18_643:
	s_andn2_b64 vcc, exec, s[0:1]
	s_cbranch_vccnz .LBB18_645
; %bb.644:
	global_load_dword v2, v[0:1], off
.LBB18_645:
	s_mov_b64 s[0:1], 0
.LBB18_646:
	s_andn2_b64 vcc, exec, s[0:1]
	s_cbranch_vccnz .LBB18_648
; %bb.647:
	global_load_ushort v2, v[0:1], off
	s_waitcnt vmcnt(0)
	v_cvt_f32_f16_e32 v2, v2
.LBB18_648:
	s_mov_b64 s[0:1], 0
.LBB18_649:
	s_andn2_b64 vcc, exec, s[0:1]
	s_cbranch_vccnz .LBB18_669
; %bb.650:
	s_cmp_lt_i32 s34, 2
	s_cbranch_scc1 .LBB18_654
; %bb.651:
	s_cmp_lt_i32 s34, 3
	s_cbranch_scc1 .LBB18_655
; %bb.652:
	s_cmp_gt_i32 s34, 3
	s_cbranch_scc0 .LBB18_656
; %bb.653:
	global_load_dwordx2 v[2:3], v[0:1], off
	s_mov_b64 s[0:1], 0
	s_waitcnt vmcnt(0)
	v_xor_b32_e32 v5, v2, v3
	v_ffbh_i32_e32 v4, v3
	v_ashrrev_i32_e32 v5, 31, v5
	v_add_u32_e32 v4, -1, v4
	v_add_u32_e32 v5, 32, v5
	v_min_u32_e32 v4, v4, v5
	v_lshlrev_b64 v[2:3], v4, v[2:3]
	v_min_u32_e32 v2, 1, v2
	v_or_b32_e32 v2, v3, v2
	v_cvt_f32_i32_e32 v2, v2
	v_sub_u32_e32 v3, 32, v4
	v_ldexp_f32 v2, v2, v3
	s_branch .LBB18_657
.LBB18_654:
	s_mov_b64 s[0:1], -1
                                        ; implicit-def: $vgpr2
	s_branch .LBB18_663
.LBB18_655:
	s_mov_b64 s[0:1], -1
                                        ; implicit-def: $vgpr2
	s_branch .LBB18_660
.LBB18_656:
	s_mov_b64 s[0:1], -1
                                        ; implicit-def: $vgpr2
.LBB18_657:
	s_andn2_b64 vcc, exec, s[0:1]
	s_cbranch_vccnz .LBB18_659
; %bb.658:
	global_load_dword v2, v[0:1], off
	s_waitcnt vmcnt(0)
	v_cvt_f32_i32_e32 v2, v2
.LBB18_659:
	s_mov_b64 s[0:1], 0
.LBB18_660:
	s_andn2_b64 vcc, exec, s[0:1]
	s_cbranch_vccnz .LBB18_662
; %bb.661:
	global_load_sshort v2, v[0:1], off
	s_waitcnt vmcnt(0)
	v_cvt_f32_i32_e32 v2, v2
.LBB18_662:
	s_mov_b64 s[0:1], 0
.LBB18_663:
	s_andn2_b64 vcc, exec, s[0:1]
	s_cbranch_vccnz .LBB18_669
; %bb.664:
	s_cmp_gt_i32 s34, 0
	s_cbranch_scc0 .LBB18_666
; %bb.665:
	global_load_sbyte v2, v[0:1], off
	s_mov_b64 s[0:1], 0
	s_waitcnt vmcnt(0)
	v_cvt_f32_i32_e32 v2, v2
	s_branch .LBB18_667
.LBB18_666:
	s_mov_b64 s[0:1], -1
                                        ; implicit-def: $vgpr2
.LBB18_667:
	s_andn2_b64 vcc, exec, s[0:1]
	s_cbranch_vccnz .LBB18_669
; %bb.668:
	global_load_ubyte v0, v[0:1], off
	s_waitcnt vmcnt(0)
	v_cvt_f32_ubyte0_e32 v2, v0
.LBB18_669:
	s_mov_b64 s[0:1], -1
.LBB18_670:
	s_andn2_b64 vcc, exec, s[0:1]
	s_cbranch_vccnz .LBB18_690
; %bb.671:
	s_mov_b32 s0, 0x41000000
	s_waitcnt vmcnt(0)
	v_cmp_le_f32_e64 s[0:1], |v2|, s0
                                        ; implicit-def: $vgpr0
	s_and_saveexec_b64 s[28:29], s[0:1]
	s_xor_b64 s[28:29], exec, s[28:29]
	s_cbranch_execz .LBB18_677
; %bb.672:
	v_fma_f32 v0, |v2|, 0.5, -2.0
	v_mov_b32_e32 v1, 0xa3c2be86
	v_fmac_f32_e32 v1, 0x224cf950, v0
	v_mov_b32_e32 v3, 0xa24cf950
	v_fmac_f32_e32 v3, v0, v1
	v_add_f32_e32 v3, 0x25331f1f, v3
	v_fma_f32 v1, v0, v3, -v1
	v_add_f32_e32 v1, 0xa69f5554, v1
	v_fma_f32 v3, v0, v1, -v3
	;; [unrolled: 2-line block ×25, first 2 shown]
	v_add_f32_e32 v1, 0xbe34a688, v1
	s_mov_b32 s0, 0x3fb8aa3b
	v_fma_f32 v0, v0, v1, -v3
	v_mul_f32_e64 v1, |v2|, s0
	v_rndne_f32_e32 v4, v1
	v_sub_f32_e32 v5, v1, v4
	v_fma_f32 v1, |v2|, s0, -v1
	s_mov_b32 s0, 0x32a5705f
	v_fma_f32 v1, |v2|, s0, v1
	v_add_f32_e32 v1, v5, v1
	v_exp_f32_e32 v5, v1
	v_cvt_i32_f32_e32 v4, v4
	v_add_f32_e32 v0, 0x3e81531c, v0
	v_sub_f32_e32 v0, v0, v3
	v_mul_f32_e32 v0, 0.5, v0
	s_mov_b32 s0, 0xc2ce8ed0
	v_mul_f32_e64 v1, |v2|, v0
	v_ldexp_f32 v0, v5, v4
	v_cmp_nlt_f32_e64 s[0:1], |v2|, s0
	v_cndmask_b32_e64 v0, 0, v0, s[0:1]
	s_mov_b32 s0, 0x42b17218
	v_mov_b32_e32 v3, 0x7f800000
	v_cmp_ngt_f32_e64 s[0:1], |v2|, s0
	v_cmp_ngt_f32_e32 vcc, 0, v2
	v_cndmask_b32_e64 v2, v3, v0, s[0:1]
                                        ; implicit-def: $vgpr0
	s_and_saveexec_b64 s[0:1], vcc
	s_xor_b64 s[0:1], exec, s[0:1]
; %bb.673:
	v_mul_f32_e32 v0, v2, v1
                                        ; implicit-def: $vgpr2
                                        ; implicit-def: $vgpr1
; %bb.674:
	s_andn2_saveexec_b64 s[0:1], s[0:1]
; %bb.675:
	v_mul_f32_e64 v0, v1, -v2
; %bb.676:
	s_or_b64 exec, exec, s[0:1]
                                        ; implicit-def: $vgpr2
.LBB18_677:
	s_andn2_saveexec_b64 s[28:29], s[28:29]
	s_cbranch_execz .LBB18_683
; %bb.678:
	v_and_b32_e32 v0, 0x7fffffff, v2
	s_mov_b32 s30, 0x42000000
	v_div_scale_f32 v1, s[0:1], v0, v0, s30
	v_div_scale_f32 v0, vcc, s30, v0, s30
	s_mov_b32 s31, 0x3fb8aa3b
	s_mov_b32 s34, 0x32a5705f
	v_mov_b32_e32 v3, 0x22a2dc57
	v_mov_b32_e32 v5, 0xa30aab6e
	v_cmp_ngt_f32_e64 s[0:1], 0, v2
	v_rcp_f32_e32 v4, v1
	v_fma_f32 v6, -v1, v4, 1.0
	v_fmac_f32_e32 v4, v6, v4
	v_mul_f32_e32 v6, v0, v4
	v_fma_f32 v8, -v1, v6, v0
	v_fmac_f32_e32 v6, v8, v4
	v_fma_f32 v0, -v1, v6, v0
	v_div_fmas_f32 v0, v0, v4, v6
	v_mul_f32_e64 v1, |v2|, s31
	v_rndne_f32_e32 v4, v1
	v_fma_f32 v6, |v2|, s31, -v1
	v_sub_f32_e32 v1, v1, v4
	v_fma_f32 v6, |v2|, s34, v6
	v_add_f32_e32 v1, v1, v6
	v_cvt_i32_f32_e32 v4, v4
	v_exp_f32_e32 v1, v1
	s_mov_b32 s31, 0xc2ce8ed0
	s_mov_b32 s34, 0x42b17218
	v_cmp_nlt_f32_e64 vcc, |v2|, s31
	v_ldexp_f32 v1, v1, v4
	v_mov_b32_e32 v6, 0x7f800000
	v_cndmask_b32_e32 v1, 0, v1, vcc
	v_cmp_ngt_f32_e64 vcc, |v2|, s34
	v_div_fixup_f32 v0, v0, |v2|, s30
	v_add_f32_e32 v0, -2.0, v0
	v_fmac_f32_e32 v3, 0x230aab6e, v0
	v_fmac_f32_e32 v5, v0, v3
	v_add_f32_e32 v4, 0xa456751e, v5
	v_fma_f32 v3, v0, v4, -v3
	v_add_f32_e32 v3, 0xa4140365, v3
	v_fma_f32 v4, v0, v3, -v4
	;; [unrolled: 2-line block ×22, first 2 shown]
	v_add_f32_e32 v0, 0x3f4750c6, v0
	v_cndmask_b32_e32 v1, v6, v1, vcc
	v_sub_f32_e32 v3, v0, v4
                                        ; implicit-def: $vgpr0
	s_and_saveexec_b64 s[30:31], s[0:1]
	s_xor_b64 s[30:31], exec, s[30:31]
	s_cbranch_execz .LBB18_680
; %bb.679:
	s_mov_b32 s0, 0xf800000
	s_mov_b32 s1, 0x4f800000
	v_mul_f32_e64 v0, |v2|, s1
	v_cmp_lt_f32_e64 vcc, |v2|, s0
	v_cndmask_b32_e64 v0, |v2|, v0, vcc
	v_sqrt_f32_e32 v2, v0
	v_mul_f32_e32 v3, 0.5, v3
	v_mul_f32_e32 v1, v1, v3
	v_add_u32_e32 v3, -1, v2
	v_fma_f32 v4, -v3, v2, v0
	v_cmp_ge_f32_e64 s[0:1], 0, v4
	v_add_u32_e32 v4, 1, v2
	v_cndmask_b32_e64 v3, v2, v3, s[0:1]
	v_fma_f32 v2, -v4, v2, v0
	v_cmp_lt_f32_e64 s[0:1], 0, v2
	v_cndmask_b32_e64 v2, v3, v4, s[0:1]
	v_mul_f32_e32 v3, 0x37800000, v2
	v_cndmask_b32_e32 v2, v2, v3, vcc
	v_mov_b32_e32 v3, 0x260
	v_cmp_class_f32_e32 vcc, v0, v3
	v_cndmask_b32_e32 v0, v2, v0, vcc
	v_div_scale_f32 v2, s[0:1], v0, v0, v1
	v_div_scale_f32 v3, vcc, v1, v0, v1
	v_rcp_f32_e32 v4, v2
	v_fma_f32 v5, -v2, v4, 1.0
	v_fmac_f32_e32 v4, v5, v4
	v_mul_f32_e32 v5, v3, v4
	v_fma_f32 v6, -v2, v5, v3
	v_fmac_f32_e32 v5, v6, v4
	v_fma_f32 v2, -v2, v5, v3
	v_div_fmas_f32 v2, v2, v4, v5
                                        ; implicit-def: $vgpr3
	v_div_fixup_f32 v0, v2, v0, v1
                                        ; implicit-def: $vgpr2
                                        ; implicit-def: $vgpr1
.LBB18_680:
	s_andn2_saveexec_b64 s[30:31], s[30:31]
	s_cbranch_execz .LBB18_682
; %bb.681:
	s_mov_b32 s0, 0xf800000
	s_mov_b32 s1, 0x4f800000
	v_mul_f32_e64 v0, |v2|, s1
	v_cmp_lt_f32_e64 vcc, |v2|, s0
	v_cndmask_b32_e64 v0, |v2|, v0, vcc
	v_sqrt_f32_e32 v2, v0
	v_add_u32_e32 v4, -1, v2
	v_fma_f32 v5, -v4, v2, v0
	v_cmp_ge_f32_e64 s[0:1], 0, v5
	v_add_u32_e32 v5, 1, v2
	v_cndmask_b32_e64 v4, v2, v4, s[0:1]
	v_fma_f32 v2, -v5, v2, v0
	v_cmp_lt_f32_e64 s[0:1], 0, v2
	v_cndmask_b32_e64 v2, v4, v5, s[0:1]
	v_mul_f32_e32 v4, 0x37800000, v2
	v_cndmask_b32_e32 v2, v2, v4, vcc
	v_mov_b32_e32 v4, 0x260
	v_cmp_class_f32_e32 vcc, v0, v4
	v_cndmask_b32_e32 v0, v2, v0, vcc
	v_mul_f32_e32 v2, -0.5, v3
	v_mul_f32_e32 v1, v1, v2
	v_div_scale_f32 v2, s[0:1], v0, v0, v1
	v_div_scale_f32 v3, vcc, v1, v0, v1
	v_rcp_f32_e32 v4, v2
	v_fma_f32 v5, -v2, v4, 1.0
	v_fmac_f32_e32 v4, v5, v4
	v_mul_f32_e32 v5, v3, v4
	v_fma_f32 v6, -v2, v5, v3
	v_fmac_f32_e32 v5, v6, v4
	v_fma_f32 v2, -v2, v5, v3
	v_div_fmas_f32 v2, v2, v4, v5
	v_div_fixup_f32 v0, v2, v0, v1
.LBB18_682:
	s_or_b64 exec, exec, s[30:31]
.LBB18_683:
	s_or_b64 exec, exec, s[28:29]
	v_mul_lo_u32 v1, v7, s2
	v_mov_b32_e32 v3, s9
	s_and_b32 s36, s33, 0xff
	s_cmp_lt_i32 s36, 11
	v_ashrrev_i32_e32 v4, 31, v1
	v_add_co_u32_e32 v2, vcc, s8, v1
	v_addc_co_u32_e32 v3, vcc, v3, v4, vcc
	s_cbranch_scc1 .LBB18_691
; %bb.684:
	s_and_b32 s37, 0xffff, s36
	s_cmp_gt_i32 s37, 25
	s_cbranch_scc0 .LBB18_692
; %bb.685:
	s_cmp_gt_i32 s37, 28
	s_cbranch_scc0 .LBB18_693
; %bb.686:
	;; [unrolled: 3-line block ×4, first 2 shown]
	s_mov_b64 s[30:31], 0
	s_mov_b64 s[0:1], -1
	s_cmp_eq_u32 s37, 46
	s_mov_b64 s[28:29], 0
	s_cbranch_scc0 .LBB18_696
; %bb.689:
	v_bfe_u32 v1, v0, 16, 1
	s_movk_i32 s0, 0x7fff
	v_add3_u32 v1, v0, v1, s0
	v_cmp_o_f32_e32 vcc, v0, v0
	v_mov_b32_e32 v4, 0x7fc0
	v_cndmask_b32_sdwa v1, v4, v1, vcc dst_sel:DWORD dst_unused:UNUSED_PAD src0_sel:DWORD src1_sel:WORD_1
	global_store_dword v[2:3], v1, off
	s_mov_b64 s[28:29], -1
	s_mov_b64 s[0:1], 0
	s_branch .LBB18_696
.LBB18_690:
	s_mov_b64 s[30:31], 0
                                        ; implicit-def: $vgpr7
	s_mov_b64 s[0:1], s[20:21]
	s_branch .LBB18_807
.LBB18_691:
	s_mov_b64 s[30:31], -1
	s_mov_b64 s[28:29], 0
	s_mov_b64 s[0:1], s[20:21]
	s_branch .LBB18_765
.LBB18_692:
	s_mov_b64 s[30:31], -1
	s_mov_b64 s[28:29], 0
	s_mov_b64 s[0:1], s[20:21]
	s_branch .LBB18_723
.LBB18_693:
	s_mov_b64 s[30:31], -1
	s_mov_b64 s[28:29], 0
	s_mov_b64 s[0:1], s[20:21]
	s_branch .LBB18_706
.LBB18_694:
	s_mov_b64 s[30:31], -1
	s_mov_b64 s[28:29], 0
	s_mov_b64 s[0:1], s[20:21]
	s_branch .LBB18_702
.LBB18_695:
	s_mov_b64 s[30:31], -1
	s_mov_b64 s[28:29], 0
	s_mov_b64 s[0:1], s[20:21]
.LBB18_696:
	s_and_b64 vcc, exec, s[30:31]
	s_cbranch_vccz .LBB18_701
; %bb.697:
	s_cmp_eq_u32 s37, 44
	s_mov_b64 s[0:1], -1
	s_cbranch_scc0 .LBB18_701
; %bb.698:
	v_bfe_u32 v1, v0, 23, 8
	s_movk_i32 s0, 0xff
	v_cmp_ne_u32_e32 vcc, s0, v1
	v_mov_b32_e32 v4, 0xff
	s_and_saveexec_b64 s[28:29], vcc
; %bb.699:
	s_mov_b32 s0, 0x3fffff
	v_and_b32_e32 v5, 0x400000, v0
	v_and_or_b32 v1, v0, s0, v1
	v_cmp_ne_u32_e32 vcc, 0, v5
	v_cmp_ne_u32_e64 s[0:1], 0, v1
	s_and_b64 s[0:1], vcc, s[0:1]
	v_lshrrev_b32_e32 v4, 23, v0
	v_cndmask_b32_e64 v1, 0, 1, s[0:1]
	v_add_u32_e32 v4, v4, v1
; %bb.700:
	s_or_b64 exec, exec, s[28:29]
	s_mov_b64 s[28:29], -1
	s_mov_b64 s[0:1], 0
	global_store_byte v[2:3], v4, off
.LBB18_701:
	s_mov_b64 s[30:31], 0
.LBB18_702:
	s_and_b64 vcc, exec, s[30:31]
	s_cbranch_vccz .LBB18_705
; %bb.703:
	s_cmp_eq_u32 s37, 29
	s_mov_b64 s[0:1], -1
	s_cbranch_scc0 .LBB18_705
; %bb.704:
	v_trunc_f32_e32 v1, v0
	v_mul_f32_e32 v4, 0x2f800000, v1
	v_floor_f32_e32 v4, v4
	v_fmac_f32_e32 v1, 0xcf800000, v4
	v_cvt_u32_f32_e32 v5, v4
	v_cvt_u32_f32_e32 v4, v1
	s_mov_b64 s[28:29], -1
	s_mov_b64 s[0:1], 0
	s_mov_b64 s[30:31], 0
	global_store_dwordx2 v[2:3], v[4:5], off
	s_branch .LBB18_706
.LBB18_705:
	s_mov_b64 s[30:31], 0
.LBB18_706:
	s_and_b64 vcc, exec, s[30:31]
	s_cbranch_vccz .LBB18_722
; %bb.707:
	s_cmp_lt_i32 s37, 27
	s_mov_b64 s[28:29], -1
	s_cbranch_scc1 .LBB18_713
; %bb.708:
	v_cvt_u32_f32_e32 v1, v0
	s_cmp_gt_i32 s37, 27
	s_cbranch_scc0 .LBB18_710
; %bb.709:
	s_mov_b64 s[28:29], 0
	global_store_dword v[2:3], v1, off
.LBB18_710:
	s_andn2_b64 vcc, exec, s[28:29]
	s_cbranch_vccnz .LBB18_712
; %bb.711:
	global_store_short v[2:3], v1, off
.LBB18_712:
	s_mov_b64 s[28:29], 0
.LBB18_713:
	s_andn2_b64 vcc, exec, s[28:29]
	s_cbranch_vccnz .LBB18_721
; %bb.714:
	v_and_b32_e32 v1, 0x7fffffff, v0
	s_mov_b32 s28, 0x43800000
	v_cmp_gt_u32_e32 vcc, s28, v1
	v_mov_b32_e32 v4, 0x80
	s_and_saveexec_b64 s[28:29], vcc
	s_cbranch_execz .LBB18_720
; %bb.715:
	s_mov_b32 s30, 0x3bffffff
	v_cmp_lt_u32_e32 vcc, s30, v1
	s_mov_b64 s[30:31], 0
                                        ; implicit-def: $vgpr1
	s_and_saveexec_b64 s[34:35], vcc
	s_xor_b64 s[34:35], exec, s[34:35]
	s_cbranch_execz .LBB18_821
; %bb.716:
	v_bfe_u32 v1, v0, 20, 1
	s_mov_b32 s39, 0x487ffff
	v_add3_u32 v1, v0, v1, s39
	s_mov_b64 s[30:31], exec
	v_lshrrev_b32_e32 v1, 20, v1
	s_andn2_saveexec_b64 s[34:35], s[34:35]
	s_cbranch_execnz .LBB18_822
.LBB18_717:
	s_or_b64 exec, exec, s[34:35]
	v_mov_b32_e32 v4, 0
	s_and_saveexec_b64 s[34:35], s[30:31]
.LBB18_718:
	v_lshrrev_b32_e32 v4, 24, v0
	s_movk_i32 s30, 0x80
	v_and_or_b32 v4, v4, s30, v1
.LBB18_719:
	s_or_b64 exec, exec, s[34:35]
.LBB18_720:
	s_or_b64 exec, exec, s[28:29]
	global_store_byte v[2:3], v4, off
.LBB18_721:
	s_mov_b64 s[28:29], -1
.LBB18_722:
	s_mov_b64 s[30:31], 0
.LBB18_723:
	s_and_b64 vcc, exec, s[30:31]
	s_cbranch_vccz .LBB18_764
; %bb.724:
	s_cmp_gt_i32 s37, 22
	s_mov_b64 s[30:31], -1
	s_cbranch_scc0 .LBB18_756
; %bb.725:
	s_cmp_lt_i32 s37, 24
	s_mov_b64 s[28:29], -1
	s_cbranch_scc1 .LBB18_745
; %bb.726:
	s_cmp_gt_i32 s37, 24
	s_cbranch_scc0 .LBB18_734
; %bb.727:
	v_and_b32_e32 v1, 0x7fffffff, v0
	s_mov_b32 s28, 0x47800000
	v_cmp_gt_u32_e32 vcc, s28, v1
	v_mov_b32_e32 v4, 0x80
	s_and_saveexec_b64 s[28:29], vcc
	s_cbranch_execz .LBB18_733
; %bb.728:
	s_mov_b32 s30, 0x37ffffff
	v_cmp_lt_u32_e32 vcc, s30, v1
	s_mov_b64 s[30:31], 0
                                        ; implicit-def: $vgpr1
	s_and_saveexec_b64 s[34:35], vcc
	s_xor_b64 s[34:35], exec, s[34:35]
	s_cbranch_execz .LBB18_824
; %bb.729:
	v_bfe_u32 v1, v0, 21, 1
	s_mov_b32 s39, 0x88fffff
	v_add3_u32 v1, v0, v1, s39
	s_mov_b64 s[30:31], exec
	v_lshrrev_b32_e32 v1, 21, v1
	s_andn2_saveexec_b64 s[34:35], s[34:35]
	s_cbranch_execnz .LBB18_825
.LBB18_730:
	s_or_b64 exec, exec, s[34:35]
	v_mov_b32_e32 v4, 0
	s_and_saveexec_b64 s[34:35], s[30:31]
.LBB18_731:
	v_lshrrev_b32_e32 v4, 24, v0
	s_movk_i32 s30, 0x80
	v_and_or_b32 v4, v4, s30, v1
.LBB18_732:
	s_or_b64 exec, exec, s[34:35]
.LBB18_733:
	s_or_b64 exec, exec, s[28:29]
	s_mov_b64 s[28:29], 0
	global_store_byte v[2:3], v4, off
.LBB18_734:
	s_and_b64 vcc, exec, s[28:29]
	s_cbranch_vccz .LBB18_744
; %bb.735:
	v_and_b32_e32 v4, 0x7fffffff, v0
	s_mov_b32 s28, 0x43f00000
	v_cmp_gt_u32_e32 vcc, s28, v4
                                        ; implicit-def: $vgpr1
	s_and_saveexec_b64 s[28:29], vcc
	s_xor_b64 s[28:29], exec, s[28:29]
	s_cbranch_execz .LBB18_741
; %bb.736:
	s_mov_b32 s30, 0x3c7fffff
	v_cmp_lt_u32_e32 vcc, s30, v4
                                        ; implicit-def: $vgpr1
	s_and_saveexec_b64 s[30:31], vcc
	s_xor_b64 s[30:31], exec, s[30:31]
; %bb.737:
	v_bfe_u32 v1, v0, 20, 1
	s_mov_b32 s34, 0x407ffff
	v_add3_u32 v1, v0, v1, s34
	v_lshrrev_b32_e32 v4, 20, v1
	v_and_b32_e32 v1, 0xff00000, v1
	s_mov_b32 s34, 0x7f00000
	v_mov_b32_e32 v5, 0x7e
	v_cmp_ne_u32_e32 vcc, s34, v1
	v_cndmask_b32_e32 v1, v5, v4, vcc
; %bb.738:
	s_andn2_saveexec_b64 s[30:31], s[30:31]
; %bb.739:
	s_mov_b32 s34, 0x46800000
	v_add_f32_e64 v1, |v0|, s34
; %bb.740:
	s_or_b64 exec, exec, s[30:31]
                                        ; implicit-def: $vgpr4
.LBB18_741:
	s_andn2_saveexec_b64 s[28:29], s[28:29]
; %bb.742:
	s_mov_b32 s30, 0x7f800000
	v_mov_b32_e32 v1, 0x7e
	v_mov_b32_e32 v5, 0x7f
	v_cmp_lt_u32_e32 vcc, s30, v4
	v_cndmask_b32_e32 v1, v1, v5, vcc
; %bb.743:
	s_or_b64 exec, exec, s[28:29]
	v_lshrrev_b32_e32 v4, 24, v0
	s_movk_i32 s28, 0x80
	v_and_or_b32 v1, v4, s28, v1
	global_store_byte v[2:3], v1, off
.LBB18_744:
	s_mov_b64 s[28:29], 0
.LBB18_745:
	s_andn2_b64 vcc, exec, s[28:29]
	s_cbranch_vccnz .LBB18_755
; %bb.746:
	v_and_b32_e32 v4, 0x7fffffff, v0
	s_mov_b32 s28, 0x47800000
	v_cmp_gt_u32_e32 vcc, s28, v4
                                        ; implicit-def: $vgpr1
	s_and_saveexec_b64 s[28:29], vcc
	s_xor_b64 s[28:29], exec, s[28:29]
	s_cbranch_execz .LBB18_752
; %bb.747:
	s_mov_b32 s30, 0x387fffff
	v_cmp_lt_u32_e32 vcc, s30, v4
                                        ; implicit-def: $vgpr1
	s_and_saveexec_b64 s[30:31], vcc
	s_xor_b64 s[30:31], exec, s[30:31]
; %bb.748:
	v_bfe_u32 v1, v0, 21, 1
	s_mov_b32 s34, 0x80fffff
	v_add3_u32 v1, v0, v1, s34
	v_lshrrev_b32_e32 v1, 21, v1
; %bb.749:
	s_andn2_saveexec_b64 s[30:31], s[30:31]
; %bb.750:
	s_mov_b32 s34, 0x43000000
	v_add_f32_e64 v1, |v0|, s34
; %bb.751:
	s_or_b64 exec, exec, s[30:31]
                                        ; implicit-def: $vgpr4
.LBB18_752:
	s_andn2_saveexec_b64 s[28:29], s[28:29]
; %bb.753:
	s_mov_b32 s30, 0x7f800000
	v_mov_b32_e32 v1, 0x7c
	v_mov_b32_e32 v5, 0x7f
	v_cmp_lt_u32_e32 vcc, s30, v4
	v_cndmask_b32_e32 v1, v1, v5, vcc
; %bb.754:
	s_or_b64 exec, exec, s[28:29]
	v_lshrrev_b32_e32 v4, 24, v0
	s_movk_i32 s28, 0x80
	v_and_or_b32 v1, v4, s28, v1
	global_store_byte v[2:3], v1, off
.LBB18_755:
	s_mov_b64 s[30:31], 0
	s_mov_b64 s[28:29], -1
.LBB18_756:
	s_andn2_b64 vcc, exec, s[30:31]
	s_cbranch_vccnz .LBB18_764
; %bb.757:
	s_cmp_gt_i32 s37, 14
	s_mov_b64 s[30:31], -1
	s_cbranch_scc0 .LBB18_761
; %bb.758:
	s_cmp_eq_u32 s37, 15
	s_mov_b64 s[0:1], -1
	s_cbranch_scc0 .LBB18_760
; %bb.759:
	v_bfe_u32 v1, v0, 16, 1
	s_movk_i32 s0, 0x7fff
	v_add3_u32 v1, v0, v1, s0
	v_cmp_o_f32_e32 vcc, v0, v0
	v_mov_b32_e32 v4, 0x7fc0
	v_cndmask_b32_sdwa v1, v4, v1, vcc dst_sel:DWORD dst_unused:UNUSED_PAD src0_sel:DWORD src1_sel:WORD_1
	global_store_short v[2:3], v1, off
	s_mov_b64 s[28:29], -1
	s_mov_b64 s[0:1], 0
.LBB18_760:
	s_mov_b64 s[30:31], 0
.LBB18_761:
	s_and_b64 vcc, exec, s[30:31]
	s_cbranch_vccz .LBB18_764
; %bb.762:
	s_cmp_eq_u32 s37, 11
	s_mov_b64 s[0:1], -1
	s_cbranch_scc0 .LBB18_764
; %bb.763:
	v_cmp_neq_f32_e32 vcc, 0, v0
	v_cndmask_b32_e64 v1, 0, 1, vcc
	s_mov_b64 s[28:29], -1
	s_mov_b64 s[0:1], 0
	global_store_byte v[2:3], v1, off
.LBB18_764:
	s_mov_b64 s[30:31], 0
.LBB18_765:
	s_and_b64 vcc, exec, s[30:31]
	s_cbranch_vccz .LBB18_804
; %bb.766:
	s_and_b32 s30, 0xffff, s36
	s_cmp_lt_i32 s30, 5
	s_mov_b64 s[28:29], -1
	s_cbranch_scc1 .LBB18_787
; %bb.767:
	s_cmp_lt_i32 s30, 8
	s_cbranch_scc1 .LBB18_777
; %bb.768:
	s_cmp_lt_i32 s30, 9
	s_cbranch_scc1 .LBB18_774
; %bb.769:
	s_cmp_gt_i32 s30, 9
	s_cbranch_scc0 .LBB18_771
; %bb.770:
	v_cvt_f64_f32_e32 v[8:9], v0
	v_mov_b32_e32 v10, 0
	v_mov_b32_e32 v11, v10
	s_mov_b64 s[28:29], 0
	global_store_dwordx4 v[2:3], v[8:11], off
.LBB18_771:
	s_andn2_b64 vcc, exec, s[28:29]
	s_cbranch_vccnz .LBB18_773
; %bb.772:
	v_mov_b32_e32 v1, 0
	global_store_dwordx2 v[2:3], v[0:1], off
.LBB18_773:
	s_mov_b64 s[28:29], 0
.LBB18_774:
	s_andn2_b64 vcc, exec, s[28:29]
	s_cbranch_vccnz .LBB18_776
; %bb.775:
	v_cvt_f16_f32_e32 v1, v0
	global_store_dword v[2:3], v1, off
.LBB18_776:
	s_mov_b64 s[28:29], 0
.LBB18_777:
	s_andn2_b64 vcc, exec, s[28:29]
	s_cbranch_vccnz .LBB18_786
; %bb.778:
	s_cmp_lt_i32 s30, 6
	s_mov_b64 s[28:29], -1
	s_cbranch_scc1 .LBB18_784
; %bb.779:
	s_cmp_gt_i32 s30, 6
	s_cbranch_scc0 .LBB18_781
; %bb.780:
	v_cvt_f64_f32_e32 v[4:5], v0
	s_mov_b64 s[28:29], 0
	global_store_dwordx2 v[2:3], v[4:5], off
.LBB18_781:
	s_andn2_b64 vcc, exec, s[28:29]
	s_cbranch_vccnz .LBB18_783
; %bb.782:
	global_store_dword v[2:3], v0, off
.LBB18_783:
	s_mov_b64 s[28:29], 0
.LBB18_784:
	s_andn2_b64 vcc, exec, s[28:29]
	s_cbranch_vccnz .LBB18_786
; %bb.785:
	v_cvt_f16_f32_e32 v1, v0
	global_store_short v[2:3], v1, off
.LBB18_786:
	s_mov_b64 s[28:29], 0
.LBB18_787:
	s_andn2_b64 vcc, exec, s[28:29]
	s_cbranch_vccnz .LBB18_803
; %bb.788:
	s_cmp_lt_i32 s30, 2
	s_mov_b64 s[28:29], -1
	s_cbranch_scc1 .LBB18_798
; %bb.789:
	s_cmp_lt_i32 s30, 3
	s_cbranch_scc1 .LBB18_795
; %bb.790:
	s_cmp_gt_i32 s30, 3
	s_cbranch_scc0 .LBB18_792
; %bb.791:
	v_trunc_f32_e32 v1, v0
	s_mov_b32 s28, 0x2f800000
	v_mul_f32_e64 v4, |v1|, s28
	v_floor_f32_e32 v4, v4
	s_mov_b32 s28, 0xcf800000
	v_cvt_u32_f32_e32 v5, v4
	v_fma_f32 v4, v4, s28, |v1|
	v_cvt_u32_f32_e32 v4, v4
	v_ashrrev_i32_e32 v1, 31, v1
	v_xor_b32_e32 v5, v5, v1
	s_mov_b64 s[28:29], 0
	v_xor_b32_e32 v4, v4, v1
	v_sub_co_u32_e32 v4, vcc, v4, v1
	v_subb_co_u32_e32 v5, vcc, v5, v1, vcc
	global_store_dwordx2 v[2:3], v[4:5], off
.LBB18_792:
	s_andn2_b64 vcc, exec, s[28:29]
	s_cbranch_vccnz .LBB18_794
; %bb.793:
	v_cvt_i32_f32_e32 v1, v0
	global_store_dword v[2:3], v1, off
.LBB18_794:
	s_mov_b64 s[28:29], 0
.LBB18_795:
	s_andn2_b64 vcc, exec, s[28:29]
	s_cbranch_vccnz .LBB18_797
; %bb.796:
	v_cvt_i32_f32_e32 v1, v0
	global_store_short v[2:3], v1, off
.LBB18_797:
	s_mov_b64 s[28:29], 0
.LBB18_798:
	s_andn2_b64 vcc, exec, s[28:29]
	s_cbranch_vccnz .LBB18_803
; %bb.799:
	s_cmp_gt_i32 s30, 0
	s_mov_b64 s[28:29], -1
	s_cbranch_scc0 .LBB18_801
; %bb.800:
	v_cvt_i32_f32_e32 v1, v0
	s_mov_b64 s[28:29], 0
	global_store_byte v[2:3], v1, off
.LBB18_801:
	s_andn2_b64 vcc, exec, s[28:29]
	s_cbranch_vccnz .LBB18_803
; %bb.802:
	v_trunc_f32_e32 v0, v0
	s_mov_b32 s28, 0x2f800000
	v_mul_f32_e64 v1, |v0|, s28
	v_floor_f32_e32 v1, v1
	s_mov_b32 s28, 0xcf800000
	v_fma_f32 v1, v1, s28, |v0|
	v_cvt_u32_f32_e32 v1, v1
	v_ashrrev_i32_e32 v0, 31, v0
	v_xor_b32_e32 v1, v1, v0
	v_sub_u32_e32 v0, v1, v0
	global_store_byte v[2:3], v0, off
.LBB18_803:
	s_mov_b64 s[28:29], -1
.LBB18_804:
	s_andn2_b64 vcc, exec, s[28:29]
	s_cbranch_vccnz .LBB18_806
; %bb.805:
	v_add_u32_e32 v7, 0x80, v7
	s_mov_b64 s[30:31], -1
	s_branch .LBB18_807
.LBB18_806:
	s_mov_b64 s[30:31], 0
                                        ; implicit-def: $vgpr7
.LBB18_807:
	s_andn2_b64 s[28:29], s[20:21], exec
	s_and_b64 s[0:1], s[0:1], exec
	s_or_b64 s[28:29], s[28:29], s[0:1]
	s_andn2_b64 s[0:1], s[18:19], exec
	s_and_b64 s[26:27], s[26:27], exec
	s_or_b64 s[0:1], s[0:1], s[26:27]
	s_orn2_b64 s[34:35], s[30:31], exec
.LBB18_808:
	s_or_b64 exec, exec, s[24:25]
	s_mov_b64 s[30:31], 0
	s_mov_b64 s[26:27], 0
	s_mov_b64 s[36:37], 0
                                        ; implicit-def: $vgpr0_vgpr1
                                        ; implicit-def: $vgpr4
	s_and_saveexec_b64 s[24:25], s[34:35]
	s_cbranch_execz .LBB18_893
; %bb.809:
	v_cmp_gt_i32_e32 vcc, s38, v7
	s_mov_b64 s[34:35], 0
	s_mov_b64 s[38:39], s[0:1]
	;; [unrolled: 1-line block ×3, first 2 shown]
                                        ; implicit-def: $vgpr0_vgpr1
                                        ; implicit-def: $vgpr4
	s_and_saveexec_b64 s[26:27], vcc
	s_cbranch_execz .LBB18_892
; %bb.810:
	v_mul_lo_u32 v0, v7, s3
	v_mov_b32_e32 v1, s11
	s_and_b32 s43, 0xffff, s42
	s_cmp_lt_i32 s43, 11
	s_waitcnt vmcnt(0)
	v_ashrrev_i32_e32 v2, 31, v0
	v_add_co_u32_e32 v0, vcc, s10, v0
	v_addc_co_u32_e32 v1, vcc, v1, v2, vcc
	s_cbranch_scc1 .LBB18_817
; %bb.811:
	s_cmp_gt_i32 s43, 25
	s_cbranch_scc0 .LBB18_818
; %bb.812:
	s_cmp_gt_i32 s43, 28
	s_cbranch_scc0 .LBB18_819
	;; [unrolled: 3-line block ×4, first 2 shown]
; %bb.815:
	s_cmp_eq_u32 s43, 46
	s_mov_b64 s[38:39], 0
	s_cbranch_scc0 .LBB18_826
; %bb.816:
	global_load_dword v2, v[0:1], off
	s_mov_b64 s[36:37], -1
	s_waitcnt vmcnt(0)
	v_lshlrev_b32_e32 v4, 16, v2
	s_branch .LBB18_828
.LBB18_817:
	s_mov_b64 s[38:39], -1
                                        ; implicit-def: $vgpr4
	s_mov_b64 s[30:31], s[0:1]
	s_branch .LBB18_891
.LBB18_818:
	s_mov_b64 s[38:39], -1
	s_mov_b64 s[30:31], s[0:1]
                                        ; implicit-def: $vgpr4
	s_branch .LBB18_857
.LBB18_819:
	s_mov_b64 s[38:39], -1
	s_mov_b64 s[30:31], s[0:1]
                                        ; implicit-def: $vgpr4
	s_branch .LBB18_838
.LBB18_820:
	s_mov_b64 s[38:39], -1
	s_mov_b64 s[30:31], s[0:1]
                                        ; implicit-def: $vgpr4
	s_branch .LBB18_833
.LBB18_821:
	s_andn2_saveexec_b64 s[34:35], s[34:35]
	s_cbranch_execz .LBB18_717
.LBB18_822:
	s_mov_b32 s39, 0x46000000
	v_add_f32_e64 v1, |v0|, s39
	v_and_b32_e32 v1, 0xff, v1
	v_cmp_ne_u32_e32 vcc, 0, v1
	s_andn2_b64 s[30:31], s[30:31], exec
	s_and_b64 s[40:41], vcc, exec
	s_or_b64 s[30:31], s[30:31], s[40:41]
	s_or_b64 exec, exec, s[34:35]
	v_mov_b32_e32 v4, 0
	s_and_saveexec_b64 s[34:35], s[30:31]
	s_cbranch_execnz .LBB18_718
	s_branch .LBB18_719
.LBB18_823:
	s_mov_b64 s[38:39], -1
	s_mov_b64 s[30:31], s[0:1]
	s_branch .LBB18_827
.LBB18_824:
	s_andn2_saveexec_b64 s[34:35], s[34:35]
	s_cbranch_execz .LBB18_730
.LBB18_825:
	s_mov_b32 s39, 0x42800000
	v_add_f32_e64 v1, |v0|, s39
	v_and_b32_e32 v1, 0xff, v1
	v_cmp_ne_u32_e32 vcc, 0, v1
	s_andn2_b64 s[30:31], s[30:31], exec
	s_and_b64 s[40:41], vcc, exec
	s_or_b64 s[30:31], s[30:31], s[40:41]
	s_or_b64 exec, exec, s[34:35]
	v_mov_b32_e32 v4, 0
	s_and_saveexec_b64 s[34:35], s[30:31]
	s_cbranch_execnz .LBB18_731
	s_branch .LBB18_732
.LBB18_826:
	s_mov_b64 s[30:31], -1
.LBB18_827:
                                        ; implicit-def: $vgpr4
.LBB18_828:
	s_and_b64 vcc, exec, s[38:39]
	s_cbranch_vccz .LBB18_832
; %bb.829:
	s_cmp_eq_u32 s43, 44
	s_cbranch_scc0 .LBB18_831
; %bb.830:
	global_load_ubyte v2, v[0:1], off
	s_movk_i32 s36, 0xff
	v_mov_b32_e32 v3, 0x7f800001
	v_mov_b32_e32 v4, 0x400000
	s_mov_b64 s[30:31], 0
	s_waitcnt vmcnt(0)
	v_lshlrev_b32_e32 v5, 23, v2
	v_cmp_ne_u32_e32 vcc, s36, v2
	v_cndmask_b32_e32 v3, v3, v5, vcc
	v_cmp_ne_u32_e32 vcc, 0, v2
	v_cndmask_b32_e32 v4, v4, v3, vcc
	s_mov_b64 s[36:37], -1
	s_branch .LBB18_832
.LBB18_831:
	s_mov_b64 s[30:31], -1
                                        ; implicit-def: $vgpr4
.LBB18_832:
	s_mov_b64 s[38:39], 0
.LBB18_833:
	s_and_b64 vcc, exec, s[38:39]
	s_cbranch_vccz .LBB18_837
; %bb.834:
	s_cmp_eq_u32 s43, 29
	s_cbranch_scc0 .LBB18_836
; %bb.835:
	global_load_dwordx2 v[2:3], v[0:1], off
	s_mov_b64 s[30:31], 0
	s_mov_b64 s[36:37], -1
	s_mov_b64 s[38:39], 0
	s_waitcnt vmcnt(0)
	v_ffbh_u32_e32 v4, v3
	v_min_u32_e32 v4, 32, v4
	v_lshlrev_b64 v[2:3], v4, v[2:3]
	v_min_u32_e32 v2, 1, v2
	v_or_b32_e32 v2, v3, v2
	v_cvt_f32_u32_e32 v2, v2
	v_sub_u32_e32 v3, 32, v4
	v_ldexp_f32 v4, v2, v3
	s_branch .LBB18_838
.LBB18_836:
	s_mov_b64 s[30:31], -1
                                        ; implicit-def: $vgpr4
.LBB18_837:
	s_mov_b64 s[38:39], 0
.LBB18_838:
	s_and_b64 vcc, exec, s[38:39]
	s_cbranch_vccz .LBB18_856
; %bb.839:
	s_cmp_lt_i32 s43, 27
	s_cbranch_scc1 .LBB18_842
; %bb.840:
	s_cmp_gt_i32 s43, 27
	s_cbranch_scc0 .LBB18_843
; %bb.841:
	global_load_dword v2, v[0:1], off
	s_mov_b64 s[36:37], 0
	s_waitcnt vmcnt(0)
	v_cvt_f32_u32_e32 v4, v2
	s_branch .LBB18_844
.LBB18_842:
	s_mov_b64 s[36:37], -1
                                        ; implicit-def: $vgpr4
	s_branch .LBB18_847
.LBB18_843:
	s_mov_b64 s[36:37], -1
                                        ; implicit-def: $vgpr4
.LBB18_844:
	s_andn2_b64 vcc, exec, s[36:37]
	s_cbranch_vccnz .LBB18_846
; %bb.845:
	global_load_ushort v2, v[0:1], off
	s_waitcnt vmcnt(0)
	v_cvt_f32_u32_e32 v4, v2
.LBB18_846:
	s_mov_b64 s[36:37], 0
.LBB18_847:
	s_andn2_b64 vcc, exec, s[36:37]
	s_cbranch_vccnz .LBB18_855
; %bb.848:
	global_load_ubyte v2, v[0:1], off
	s_movk_i32 s36, 0x7f
	s_waitcnt vmcnt(0)
	v_cmp_lt_i16_e32 vcc, s36, v2
	s_mov_b64 s[36:37], 0
	s_and_saveexec_b64 s[38:39], vcc
	s_xor_b64 s[38:39], exec, s[38:39]
	s_cbranch_execz .LBB18_869
; %bb.849:
	s_movk_i32 s36, 0x80
	v_cmp_eq_u16_e32 vcc, s36, v2
	s_mov_b64 s[36:37], -1
	s_and_saveexec_b64 s[40:41], vcc
; %bb.850:
	s_xor_b64 s[36:37], exec, -1
; %bb.851:
	s_or_b64 exec, exec, s[40:41]
	s_and_b64 s[36:37], s[36:37], exec
	s_or_saveexec_b64 s[38:39], s[38:39]
	v_mov_b32_e32 v4, 0x7f800001
	s_xor_b64 exec, exec, s[38:39]
	s_cbranch_execnz .LBB18_870
.LBB18_852:
	s_or_b64 exec, exec, s[38:39]
	s_and_saveexec_b64 s[38:39], s[36:37]
	s_cbranch_execz .LBB18_854
.LBB18_853:
	v_lshlrev_b32_e32 v3, 24, v2
	v_and_b32_e32 v2, 0xffff, v2
	v_and_b32_e32 v4, 7, v2
	v_ffbh_u32_e32 v6, v4
	v_min_u32_e32 v6, 32, v6
	v_subrev_u32_e32 v8, 28, v6
	v_bfe_u32 v5, v2, 3, 4
	v_lshlrev_b32_e32 v2, v8, v2
	v_sub_u32_e32 v6, 29, v6
	v_and_b32_e32 v2, 7, v2
	v_cmp_eq_u32_e32 vcc, 0, v5
	v_cndmask_b32_e32 v5, v5, v6, vcc
	v_cndmask_b32_e32 v2, v4, v2, vcc
	v_mov_b32_e32 v4, 0x3b800000
	v_lshlrev_b32_e32 v2, 20, v2
	v_and_b32_e32 v3, 0x80000000, v3
	v_lshl_add_u32 v4, v5, 23, v4
	v_or3_b32 v4, v3, v4, v2
.LBB18_854:
	s_or_b64 exec, exec, s[38:39]
.LBB18_855:
	s_mov_b64 s[36:37], -1
.LBB18_856:
	s_mov_b64 s[38:39], 0
.LBB18_857:
	s_and_b64 vcc, exec, s[38:39]
	s_cbranch_vccz .LBB18_890
; %bb.858:
	s_cmp_gt_i32 s43, 22
	s_cbranch_scc0 .LBB18_868
; %bb.859:
	s_cmp_lt_i32 s43, 24
	s_cbranch_scc1 .LBB18_871
; %bb.860:
	s_cmp_gt_i32 s43, 24
	s_cbranch_scc0 .LBB18_872
; %bb.861:
	global_load_ubyte v2, v[0:1], off
	s_movk_i32 s34, 0x7f
	s_waitcnt vmcnt(0)
	v_cmp_lt_i16_e32 vcc, s34, v2
	s_mov_b64 s[34:35], 0
	s_and_saveexec_b64 s[36:37], vcc
	s_xor_b64 s[36:37], exec, s[36:37]
	s_cbranch_execz .LBB18_884
; %bb.862:
	s_movk_i32 s34, 0x80
	v_cmp_eq_u16_e32 vcc, s34, v2
	s_mov_b64 s[34:35], -1
	s_and_saveexec_b64 s[38:39], vcc
; %bb.863:
	s_xor_b64 s[34:35], exec, -1
; %bb.864:
	s_or_b64 exec, exec, s[38:39]
	s_and_b64 s[34:35], s[34:35], exec
	s_or_saveexec_b64 s[36:37], s[36:37]
	v_mov_b32_e32 v4, 0x7f800001
	s_xor_b64 exec, exec, s[36:37]
	s_cbranch_execnz .LBB18_885
.LBB18_865:
	s_or_b64 exec, exec, s[36:37]
	s_and_saveexec_b64 s[36:37], s[34:35]
	s_cbranch_execz .LBB18_867
.LBB18_866:
	v_lshlrev_b32_e32 v3, 24, v2
	v_and_b32_e32 v2, 0xffff, v2
	v_and_b32_e32 v4, 3, v2
	v_ffbh_u32_e32 v6, v4
	v_min_u32_e32 v6, 32, v6
	v_subrev_u32_e32 v8, 29, v6
	v_bfe_u32 v5, v2, 2, 5
	v_lshlrev_b32_e32 v2, v8, v2
	v_sub_u32_e32 v6, 30, v6
	v_and_b32_e32 v2, 3, v2
	v_cmp_eq_u32_e32 vcc, 0, v5
	v_cndmask_b32_e32 v5, v5, v6, vcc
	v_cndmask_b32_e32 v2, v4, v2, vcc
	v_mov_b32_e32 v4, 0x37800000
	v_lshlrev_b32_e32 v2, 21, v2
	v_and_b32_e32 v3, 0x80000000, v3
	v_lshl_add_u32 v4, v5, 23, v4
	v_or3_b32 v4, v3, v4, v2
.LBB18_867:
	s_or_b64 exec, exec, s[36:37]
	s_mov_b64 s[34:35], 0
	s_branch .LBB18_873
.LBB18_868:
	s_mov_b64 s[34:35], -1
                                        ; implicit-def: $vgpr4
	s_branch .LBB18_879
.LBB18_869:
	s_or_saveexec_b64 s[38:39], s[38:39]
	v_mov_b32_e32 v4, 0x7f800001
	s_xor_b64 exec, exec, s[38:39]
	s_cbranch_execz .LBB18_852
.LBB18_870:
	v_cmp_ne_u16_e32 vcc, 0, v2
	s_andn2_b64 s[36:37], s[36:37], exec
	s_and_b64 s[40:41], vcc, exec
	v_mov_b32_e32 v4, 0
	s_or_b64 s[36:37], s[36:37], s[40:41]
	s_or_b64 exec, exec, s[38:39]
	s_and_saveexec_b64 s[38:39], s[36:37]
	s_cbranch_execnz .LBB18_853
	s_branch .LBB18_854
.LBB18_871:
	s_mov_b64 s[34:35], -1
                                        ; implicit-def: $vgpr4
	s_branch .LBB18_876
.LBB18_872:
	s_mov_b64 s[34:35], -1
                                        ; implicit-def: $vgpr4
.LBB18_873:
	s_and_b64 vcc, exec, s[34:35]
	s_cbranch_vccz .LBB18_875
; %bb.874:
	global_load_ubyte v2, v[0:1], off
	s_mov_b32 s34, 0x7f800000
	s_waitcnt vmcnt(0)
	v_lshlrev_b32_e32 v2, 24, v2
	v_and_b32_e32 v3, 0x7f000000, v2
	v_ffbh_u32_e32 v4, v3
	v_min_u32_e32 v4, 32, v4
	v_sub_u32_e64 v4, v4, 4 clamp
	v_lshlrev_b32_e32 v6, v4, v3
	v_lshlrev_b32_e32 v4, 23, v4
	v_lshrrev_b32_e32 v6, 4, v6
	v_add_u32_e32 v5, 0x1000000, v3
	v_sub_u32_e32 v4, v6, v4
	v_ashrrev_i32_e32 v5, 8, v5
	v_add_u32_e32 v4, 0x3c000000, v4
	v_and_or_b32 v4, v5, s34, v4
	v_cmp_ne_u32_e32 vcc, 0, v3
	v_cndmask_b32_e32 v3, 0, v4, vcc
	s_brev_b32 s34, 1
	v_and_or_b32 v4, v2, s34, v3
.LBB18_875:
	s_mov_b64 s[34:35], 0
.LBB18_876:
	s_andn2_b64 vcc, exec, s[34:35]
	s_cbranch_vccnz .LBB18_878
; %bb.877:
	global_load_ubyte v2, v[0:1], off
	s_movk_i32 s34, 0x7f00
	s_brev_b32 s35, 16
	s_waitcnt vmcnt(0)
	v_lshlrev_b16_e32 v3, 8, v2
	v_lshlrev_b32_e32 v2, 25, v2
	v_lshrrev_b32_e32 v4, 4, v2
	v_and_or_b32 v5, v3, s34, 0.5
	v_or_b32_e32 v4, 0x70000000, v4
	v_add_f32_e32 v5, -0.5, v5
	v_mul_f32_e32 v4, 0x7800000, v4
	v_cmp_gt_u32_e32 vcc, s35, v2
	v_bfe_i32 v3, v3, 0, 16
	v_cndmask_b32_e32 v2, v4, v5, vcc
	s_brev_b32 s34, 1
	v_and_or_b32 v4, v3, s34, v2
.LBB18_878:
	s_mov_b64 s[34:35], 0
	s_mov_b64 s[36:37], -1
.LBB18_879:
	s_andn2_b64 vcc, exec, s[34:35]
	s_mov_b64 s[34:35], 0
	s_cbranch_vccnz .LBB18_890
; %bb.880:
	s_cmp_gt_i32 s43, 14
	s_cbranch_scc0 .LBB18_883
; %bb.881:
	s_cmp_eq_u32 s43, 15
	s_cbranch_scc0 .LBB18_886
; %bb.882:
	global_load_ushort v2, v[0:1], off
	s_mov_b64 s[30:31], 0
	s_mov_b64 s[36:37], -1
	s_waitcnt vmcnt(0)
	v_lshlrev_b32_e32 v4, 16, v2
	s_branch .LBB18_887
.LBB18_883:
	s_mov_b64 s[38:39], -1
                                        ; implicit-def: $vgpr4
	s_branch .LBB18_888
.LBB18_884:
	s_or_saveexec_b64 s[36:37], s[36:37]
	v_mov_b32_e32 v4, 0x7f800001
	s_xor_b64 exec, exec, s[36:37]
	s_cbranch_execz .LBB18_865
.LBB18_885:
	v_cmp_ne_u16_e32 vcc, 0, v2
	s_andn2_b64 s[34:35], s[34:35], exec
	s_and_b64 s[38:39], vcc, exec
	v_mov_b32_e32 v4, 0
	s_or_b64 s[34:35], s[34:35], s[38:39]
	s_or_b64 exec, exec, s[36:37]
	s_and_saveexec_b64 s[36:37], s[34:35]
	s_cbranch_execnz .LBB18_866
	s_branch .LBB18_867
.LBB18_886:
	s_mov_b64 s[30:31], -1
                                        ; implicit-def: $vgpr4
.LBB18_887:
	s_mov_b64 s[38:39], 0
.LBB18_888:
	s_and_b64 vcc, exec, s[38:39]
	s_cbranch_vccz .LBB18_890
; %bb.889:
	s_cmp_lg_u32 s43, 11
	s_cselect_b64 s[38:39], -1, 0
	s_andn2_b64 s[30:31], s[30:31], exec
	s_and_b64 s[38:39], s[38:39], exec
	s_mov_b64 s[34:35], -1
	s_or_b64 s[30:31], s[30:31], s[38:39]
.LBB18_890:
	s_mov_b64 s[38:39], 0
.LBB18_891:
	s_and_b64 s[40:41], s[38:39], exec
	s_andn2_b64 s[38:39], s[0:1], exec
	s_and_b64 s[30:31], s[30:31], exec
	s_and_b64 s[36:37], s[36:37], exec
	;; [unrolled: 1-line block ×3, first 2 shown]
	s_or_b64 s[38:39], s[38:39], s[30:31]
.LBB18_892:
	s_or_b64 exec, exec, s[26:27]
	s_and_b64 s[30:31], s[34:35], exec
	s_andn2_b64 s[0:1], s[0:1], exec
	s_and_b64 s[34:35], s[38:39], exec
	s_and_b64 s[36:37], s[36:37], exec
	;; [unrolled: 1-line block ×3, first 2 shown]
	s_or_b64 s[0:1], s[0:1], s[34:35]
.LBB18_893:
	s_or_b64 exec, exec, s[24:25]
	s_andn2_b64 s[20:21], s[20:21], exec
	s_and_b64 s[24:25], s[28:29], exec
	s_andn2_b64 s[18:19], s[18:19], exec
	s_and_b64 s[0:1], s[0:1], exec
	s_or_b64 s[20:21], s[20:21], s[24:25]
	s_and_b64 s[28:29], s[36:37], exec
	s_and_b64 s[26:27], s[26:27], exec
	;; [unrolled: 1-line block ×3, first 2 shown]
	s_or_b64 s[18:19], s[18:19], s[0:1]
.LBB18_894:
	s_or_b64 exec, exec, s[22:23]
	s_andn2_b64 s[0:1], s[6:7], exec
	s_and_b64 s[6:7], s[20:21], exec
	s_andn2_b64 s[14:15], s[14:15], exec
	s_and_b64 s[18:19], s[18:19], exec
	s_or_b64 s[6:7], s[0:1], s[6:7]
	s_and_b64 s[0:1], s[28:29], exec
	s_and_b64 s[22:23], s[26:27], exec
	;; [unrolled: 1-line block ×3, first 2 shown]
	s_or_b64 s[14:15], s[14:15], s[18:19]
	s_or_b64 exec, exec, s[16:17]
	s_mov_b64 s[16:17], 0
	s_and_saveexec_b64 s[18:19], s[14:15]
	s_cbranch_execz .LBB18_274
.LBB18_895:
	s_mov_b64 s[16:17], exec
	s_andn2_b64 s[20:21], s[20:21], exec
	s_trap 2
	s_or_b64 exec, exec, s[18:19]
	s_and_saveexec_b64 s[14:15], s[20:21]
	s_xor_b64 s[14:15], exec, s[14:15]
	s_cbranch_execnz .LBB18_275
.LBB18_896:
	s_or_b64 exec, exec, s[14:15]
	s_and_saveexec_b64 s[14:15], s[22:23]
	s_cbranch_execz .LBB18_942
.LBB18_897:
	s_sext_i32_i16 s18, s42
	s_cmp_lt_i32 s18, 5
	s_cbranch_scc1 .LBB18_902
; %bb.898:
	s_cmp_lt_i32 s18, 8
	s_cbranch_scc1 .LBB18_903
; %bb.899:
	;; [unrolled: 3-line block ×3, first 2 shown]
	s_cmp_gt_i32 s18, 9
	s_cbranch_scc0 .LBB18_905
; %bb.901:
	global_load_dwordx2 v[2:3], v[0:1], off
	s_mov_b64 s[18:19], 0
	s_waitcnt vmcnt(0)
	v_cvt_f32_f64_e32 v4, v[2:3]
	s_branch .LBB18_906
.LBB18_902:
                                        ; implicit-def: $vgpr4
	s_branch .LBB18_923
.LBB18_903:
                                        ; implicit-def: $vgpr4
	s_branch .LBB18_912
.LBB18_904:
	s_mov_b64 s[18:19], -1
                                        ; implicit-def: $vgpr4
	s_branch .LBB18_909
.LBB18_905:
	s_mov_b64 s[18:19], -1
                                        ; implicit-def: $vgpr4
.LBB18_906:
	s_andn2_b64 vcc, exec, s[18:19]
	s_cbranch_vccnz .LBB18_908
; %bb.907:
	global_load_dword v4, v[0:1], off
.LBB18_908:
	s_mov_b64 s[18:19], 0
.LBB18_909:
	s_andn2_b64 vcc, exec, s[18:19]
	s_cbranch_vccnz .LBB18_911
; %bb.910:
	global_load_dword v2, v[0:1], off
	s_waitcnt vmcnt(0)
	v_cvt_f32_f16_e32 v4, v2
.LBB18_911:
	s_cbranch_execnz .LBB18_922
.LBB18_912:
	s_sext_i32_i16 s18, s42
	s_cmp_lt_i32 s18, 6
	s_cbranch_scc1 .LBB18_915
; %bb.913:
	s_cmp_gt_i32 s18, 6
	s_cbranch_scc0 .LBB18_916
; %bb.914:
	global_load_dwordx2 v[2:3], v[0:1], off
	s_mov_b64 s[18:19], 0
	s_waitcnt vmcnt(0)
	v_cvt_f32_f64_e32 v4, v[2:3]
	s_branch .LBB18_917
.LBB18_915:
	s_mov_b64 s[18:19], -1
                                        ; implicit-def: $vgpr4
	s_branch .LBB18_920
.LBB18_916:
	s_mov_b64 s[18:19], -1
                                        ; implicit-def: $vgpr4
.LBB18_917:
	s_andn2_b64 vcc, exec, s[18:19]
	s_cbranch_vccnz .LBB18_919
; %bb.918:
	global_load_dword v4, v[0:1], off
.LBB18_919:
	s_mov_b64 s[18:19], 0
.LBB18_920:
	s_andn2_b64 vcc, exec, s[18:19]
	s_cbranch_vccnz .LBB18_922
; %bb.921:
	global_load_ushort v2, v[0:1], off
	s_waitcnt vmcnt(0)
	v_cvt_f32_f16_e32 v4, v2
.LBB18_922:
	s_cbranch_execnz .LBB18_941
.LBB18_923:
	s_sext_i32_i16 s18, s42
	s_cmp_lt_i32 s18, 2
	s_cbranch_scc1 .LBB18_927
; %bb.924:
	s_cmp_lt_i32 s18, 3
	s_cbranch_scc1 .LBB18_928
; %bb.925:
	s_cmp_gt_i32 s18, 3
	s_cbranch_scc0 .LBB18_929
; %bb.926:
	global_load_dwordx2 v[2:3], v[0:1], off
	s_mov_b64 s[18:19], 0
	s_waitcnt vmcnt(0)
	v_xor_b32_e32 v5, v2, v3
	v_ffbh_i32_e32 v4, v3
	v_ashrrev_i32_e32 v5, 31, v5
	v_add_u32_e32 v4, -1, v4
	v_add_u32_e32 v5, 32, v5
	v_min_u32_e32 v4, v4, v5
	v_lshlrev_b64 v[2:3], v4, v[2:3]
	v_min_u32_e32 v2, 1, v2
	v_or_b32_e32 v2, v3, v2
	v_cvt_f32_i32_e32 v2, v2
	v_sub_u32_e32 v3, 32, v4
	v_ldexp_f32 v4, v2, v3
	s_branch .LBB18_930
.LBB18_927:
                                        ; implicit-def: $vgpr4
	s_branch .LBB18_936
.LBB18_928:
	s_mov_b64 s[18:19], -1
                                        ; implicit-def: $vgpr4
	s_branch .LBB18_933
.LBB18_929:
	s_mov_b64 s[18:19], -1
                                        ; implicit-def: $vgpr4
.LBB18_930:
	s_andn2_b64 vcc, exec, s[18:19]
	s_cbranch_vccnz .LBB18_932
; %bb.931:
	global_load_dword v2, v[0:1], off
	s_waitcnt vmcnt(0)
	v_cvt_f32_i32_e32 v4, v2
.LBB18_932:
	s_mov_b64 s[18:19], 0
.LBB18_933:
	s_andn2_b64 vcc, exec, s[18:19]
	s_cbranch_vccnz .LBB18_935
; %bb.934:
	global_load_sshort v2, v[0:1], off
	s_waitcnt vmcnt(0)
	v_cvt_f32_i32_e32 v4, v2
.LBB18_935:
	s_cbranch_execnz .LBB18_941
.LBB18_936:
	s_sext_i32_i16 s18, s42
	s_cmp_gt_i32 s18, 0
	s_cbranch_scc0 .LBB18_938
; %bb.937:
	global_load_sbyte v2, v[0:1], off
	s_mov_b64 s[18:19], 0
	s_waitcnt vmcnt(0)
	v_cvt_f32_i32_e32 v4, v2
	s_branch .LBB18_939
.LBB18_938:
	s_mov_b64 s[18:19], -1
                                        ; implicit-def: $vgpr4
.LBB18_939:
	s_andn2_b64 vcc, exec, s[18:19]
	s_cbranch_vccnz .LBB18_941
; %bb.940:
	global_load_ubyte v0, v[0:1], off
	s_waitcnt vmcnt(0)
	v_cvt_f32_ubyte0_e32 v4, v0
.LBB18_941:
	s_or_b64 s[0:1], s[0:1], exec
.LBB18_942:
	s_or_b64 exec, exec, s[14:15]
	s_mov_b64 s[20:21], 0
	s_mov_b64 s[18:19], 0
                                        ; implicit-def: $sgpr26
                                        ; implicit-def: $vgpr2_vgpr3
                                        ; implicit-def: $vgpr0
	s_and_saveexec_b64 s[14:15], s[0:1]
	s_cbranch_execz .LBB18_972
; %bb.943:
	s_mov_b32 s0, 0x41000000
	s_waitcnt vmcnt(0)
	v_cmp_le_f32_e64 s[0:1], |v4|, s0
                                        ; implicit-def: $vgpr0
	s_and_saveexec_b64 s[18:19], s[0:1]
	s_xor_b64 s[18:19], exec, s[18:19]
	s_cbranch_execz .LBB18_949
; %bb.944:
	v_fma_f32 v0, |v4|, 0.5, -2.0
	v_mov_b32_e32 v1, 0xa3c2be86
	v_fmac_f32_e32 v1, 0x224cf950, v0
	v_mov_b32_e32 v2, 0xa24cf950
	v_fmac_f32_e32 v2, v0, v1
	v_add_f32_e32 v2, 0x25331f1f, v2
	v_fma_f32 v1, v0, v2, -v1
	v_add_f32_e32 v1, 0xa69f5554, v1
	v_fma_f32 v2, v0, v1, -v2
	;; [unrolled: 2-line block ×25, first 2 shown]
	v_add_f32_e32 v1, 0xbe34a688, v1
	s_mov_b32 s0, 0x3fb8aa3b
	v_fma_f32 v0, v0, v1, -v2
	v_mul_f32_e64 v1, |v4|, s0
	v_rndne_f32_e32 v3, v1
	v_sub_f32_e32 v5, v1, v3
	v_fma_f32 v1, |v4|, s0, -v1
	s_mov_b32 s0, 0x32a5705f
	v_fma_f32 v1, |v4|, s0, v1
	v_add_f32_e32 v1, v5, v1
	v_exp_f32_e32 v5, v1
	v_cvt_i32_f32_e32 v3, v3
	v_add_f32_e32 v0, 0x3e81531c, v0
	v_sub_f32_e32 v0, v0, v2
	v_mul_f32_e32 v0, 0.5, v0
	s_mov_b32 s0, 0xc2ce8ed0
	v_mul_f32_e64 v1, |v4|, v0
	v_ldexp_f32 v0, v5, v3
	v_cmp_nlt_f32_e64 s[0:1], |v4|, s0
	v_cndmask_b32_e64 v0, 0, v0, s[0:1]
	s_mov_b32 s0, 0x42b17218
	v_mov_b32_e32 v2, 0x7f800000
	v_cmp_ngt_f32_e64 s[0:1], |v4|, s0
	v_cmp_ngt_f32_e32 vcc, 0, v4
	v_cndmask_b32_e64 v2, v2, v0, s[0:1]
                                        ; implicit-def: $vgpr0
	s_and_saveexec_b64 s[0:1], vcc
	s_xor_b64 s[0:1], exec, s[0:1]
; %bb.945:
	v_mul_f32_e32 v0, v2, v1
                                        ; implicit-def: $vgpr2
                                        ; implicit-def: $vgpr1
; %bb.946:
	s_andn2_saveexec_b64 s[0:1], s[0:1]
; %bb.947:
	v_mul_f32_e64 v0, v1, -v2
; %bb.948:
	s_or_b64 exec, exec, s[0:1]
                                        ; implicit-def: $vgpr4
.LBB18_949:
	s_andn2_saveexec_b64 s[18:19], s[18:19]
	s_cbranch_execz .LBB18_955
; %bb.950:
	v_and_b32_e32 v0, 0x7fffffff, v4
	s_mov_b32 s20, 0x42000000
	v_div_scale_f32 v1, s[0:1], v0, v0, s20
	v_div_scale_f32 v0, vcc, s20, v0, s20
	s_mov_b32 s21, 0x3fb8aa3b
	s_mov_b32 s22, 0x32a5705f
	v_mov_b32_e32 v2, 0x22a2dc57
	v_mov_b32_e32 v5, 0xa30aab6e
	v_cmp_ngt_f32_e64 s[0:1], 0, v4
	v_rcp_f32_e32 v3, v1
	v_fma_f32 v6, -v1, v3, 1.0
	v_fmac_f32_e32 v3, v6, v3
	v_mul_f32_e32 v6, v0, v3
	v_fma_f32 v8, -v1, v6, v0
	v_fmac_f32_e32 v6, v8, v3
	v_fma_f32 v0, -v1, v6, v0
	v_div_fmas_f32 v0, v0, v3, v6
	v_mul_f32_e64 v1, |v4|, s21
	v_rndne_f32_e32 v3, v1
	v_fma_f32 v6, |v4|, s21, -v1
	v_sub_f32_e32 v1, v1, v3
	v_fma_f32 v6, |v4|, s22, v6
	v_add_f32_e32 v1, v1, v6
	v_cvt_i32_f32_e32 v3, v3
	v_exp_f32_e32 v1, v1
	s_mov_b32 s21, 0xc2ce8ed0
	s_mov_b32 s22, 0x42b17218
	v_cmp_nlt_f32_e64 vcc, |v4|, s21
	v_ldexp_f32 v1, v1, v3
	v_mov_b32_e32 v6, 0x7f800000
	v_cndmask_b32_e32 v1, 0, v1, vcc
	v_cmp_ngt_f32_e64 vcc, |v4|, s22
	v_div_fixup_f32 v0, v0, |v4|, s20
	v_add_f32_e32 v0, -2.0, v0
	v_fmac_f32_e32 v2, 0x230aab6e, v0
	v_fmac_f32_e32 v5, v0, v2
	v_add_f32_e32 v3, 0xa456751e, v5
	v_fma_f32 v2, v0, v3, -v2
	v_add_f32_e32 v2, 0xa4140365, v2
	v_fma_f32 v3, v0, v2, -v3
	;; [unrolled: 2-line block ×22, first 2 shown]
	v_add_f32_e32 v0, 0x3f4750c6, v0
	v_cndmask_b32_e32 v1, v6, v1, vcc
	v_sub_f32_e32 v2, v0, v3
                                        ; implicit-def: $vgpr0
	s_and_saveexec_b64 s[20:21], s[0:1]
	s_xor_b64 s[20:21], exec, s[20:21]
	s_cbranch_execz .LBB18_952
; %bb.951:
	s_mov_b32 s0, 0xf800000
	s_mov_b32 s1, 0x4f800000
	v_mul_f32_e64 v0, |v4|, s1
	v_cmp_lt_f32_e64 vcc, |v4|, s0
	v_cndmask_b32_e64 v0, |v4|, v0, vcc
	v_sqrt_f32_e32 v3, v0
	v_mul_f32_e32 v2, 0.5, v2
	v_mul_f32_e32 v1, v1, v2
	v_add_u32_e32 v2, -1, v3
	v_fma_f32 v4, -v2, v3, v0
	v_cmp_ge_f32_e64 s[0:1], 0, v4
	v_add_u32_e32 v4, 1, v3
	v_cndmask_b32_e64 v2, v3, v2, s[0:1]
	v_fma_f32 v3, -v4, v3, v0
	v_cmp_lt_f32_e64 s[0:1], 0, v3
	v_cndmask_b32_e64 v2, v2, v4, s[0:1]
	v_mul_f32_e32 v3, 0x37800000, v2
	v_cndmask_b32_e32 v2, v2, v3, vcc
	v_mov_b32_e32 v3, 0x260
	v_cmp_class_f32_e32 vcc, v0, v3
	v_cndmask_b32_e32 v0, v2, v0, vcc
	v_div_scale_f32 v2, s[0:1], v0, v0, v1
	v_div_scale_f32 v3, vcc, v1, v0, v1
	v_rcp_f32_e32 v4, v2
	v_fma_f32 v5, -v2, v4, 1.0
	v_fmac_f32_e32 v4, v5, v4
	v_mul_f32_e32 v5, v3, v4
	v_fma_f32 v6, -v2, v5, v3
	v_fmac_f32_e32 v5, v6, v4
	v_fma_f32 v2, -v2, v5, v3
	v_div_fmas_f32 v2, v2, v4, v5
                                        ; implicit-def: $vgpr4
	v_div_fixup_f32 v0, v2, v0, v1
                                        ; implicit-def: $vgpr2
                                        ; implicit-def: $vgpr1
.LBB18_952:
	s_andn2_saveexec_b64 s[20:21], s[20:21]
	s_cbranch_execz .LBB18_954
; %bb.953:
	s_mov_b32 s0, 0xf800000
	s_mov_b32 s1, 0x4f800000
	v_mul_f32_e64 v0, |v4|, s1
	v_cmp_lt_f32_e64 vcc, |v4|, s0
	v_cndmask_b32_e64 v0, |v4|, v0, vcc
	v_sqrt_f32_e32 v3, v0
	v_mul_f32_e32 v2, -0.5, v2
	v_mul_f32_e32 v1, v1, v2
	v_add_u32_e32 v4, -1, v3
	v_fma_f32 v5, -v4, v3, v0
	v_cmp_ge_f32_e64 s[0:1], 0, v5
	v_add_u32_e32 v5, 1, v3
	v_cndmask_b32_e64 v4, v3, v4, s[0:1]
	v_fma_f32 v3, -v5, v3, v0
	v_cmp_lt_f32_e64 s[0:1], 0, v3
	v_cndmask_b32_e64 v3, v4, v5, s[0:1]
	v_mul_f32_e32 v4, 0x37800000, v3
	v_cndmask_b32_e32 v3, v3, v4, vcc
	v_mov_b32_e32 v4, 0x260
	v_cmp_class_f32_e32 vcc, v0, v4
	v_cndmask_b32_e32 v0, v3, v0, vcc
	v_div_scale_f32 v2, s[0:1], v0, v0, v1
	v_div_scale_f32 v3, vcc, v1, v0, v1
	v_rcp_f32_e32 v4, v2
	v_fma_f32 v5, -v2, v4, 1.0
	v_fmac_f32_e32 v4, v5, v4
	v_mul_f32_e32 v5, v3, v4
	v_fma_f32 v6, -v2, v5, v3
	v_fmac_f32_e32 v5, v6, v4
	v_fma_f32 v2, -v2, v5, v3
	v_div_fmas_f32 v2, v2, v4, v5
	v_div_fixup_f32 v0, v2, v0, v1
.LBB18_954:
	s_or_b64 exec, exec, s[20:21]
.LBB18_955:
	s_or_b64 exec, exec, s[18:19]
	v_mul_lo_u32 v1, v7, s2
	v_mov_b32_e32 v3, s9
	s_and_b32 s26, s33, 0xff
	s_cmp_lt_i32 s26, 11
	v_ashrrev_i32_e32 v4, 31, v1
	v_add_co_u32_e32 v2, vcc, s8, v1
	v_addc_co_u32_e32 v3, vcc, v3, v4, vcc
	s_cbranch_scc1 .LBB18_975
; %bb.956:
	s_and_b32 s27, 0xffff, s26
	s_mov_b64 s[20:21], -1
	s_cmp_gt_i32 s27, 25
	s_mov_b64 s[0:1], s[6:7]
	s_cbranch_scc0 .LBB18_993
; %bb.957:
	s_mov_b64 s[18:19], -1
	s_cmp_gt_i32 s27, 28
	s_mov_b64 s[0:1], s[6:7]
	s_cbranch_scc0 .LBB18_977
; %bb.958:
	s_cmp_gt_i32 s27, 43
	s_mov_b64 s[0:1], s[6:7]
	s_cbranch_scc0 .LBB18_969
; %bb.959:
	;; [unrolled: 4-line block ×3, first 2 shown]
	s_cmp_eq_u32 s27, 46
	s_mov_b64 s[0:1], -1
	s_cbranch_scc0 .LBB18_962
; %bb.961:
	v_bfe_u32 v1, v0, 16, 1
	s_movk_i32 s0, 0x7fff
	v_add3_u32 v1, v0, v1, s0
	v_cmp_o_f32_e32 vcc, v0, v0
	v_mov_b32_e32 v4, 0x7fc0
	v_cndmask_b32_sdwa v1, v4, v1, vcc dst_sel:DWORD dst_unused:UNUSED_PAD src0_sel:DWORD src1_sel:WORD_1
	global_store_dword v[2:3], v1, off
	s_mov_b64 s[0:1], 0
.LBB18_962:
	s_mov_b64 s[18:19], 0
.LBB18_963:
	s_and_b64 vcc, exec, s[18:19]
	s_cbranch_vccz .LBB18_968
; %bb.964:
	s_cmp_eq_u32 s27, 44
	s_mov_b64 s[0:1], -1
	s_cbranch_scc0 .LBB18_968
; %bb.965:
	v_bfe_u32 v1, v0, 23, 8
	s_movk_i32 s0, 0xff
	v_cmp_ne_u32_e32 vcc, s0, v1
	v_mov_b32_e32 v4, 0xff
	s_and_saveexec_b64 s[18:19], vcc
; %bb.966:
	s_mov_b32 s0, 0x3fffff
	v_and_b32_e32 v5, 0x400000, v0
	v_and_or_b32 v1, v0, s0, v1
	v_cmp_ne_u32_e32 vcc, 0, v5
	v_cmp_ne_u32_e64 s[0:1], 0, v1
	s_and_b64 s[0:1], vcc, s[0:1]
	v_lshrrev_b32_e32 v4, 23, v0
	v_cndmask_b32_e64 v1, 0, 1, s[0:1]
	v_add_u32_e32 v4, v4, v1
; %bb.967:
	s_or_b64 exec, exec, s[18:19]
	s_mov_b64 s[0:1], 0
	global_store_byte v[2:3], v4, off
.LBB18_968:
	s_mov_b64 s[18:19], 0
.LBB18_969:
	s_and_b64 vcc, exec, s[18:19]
	s_cbranch_vccz .LBB18_976
; %bb.970:
	s_cmp_eq_u32 s27, 29
	s_mov_b64 s[0:1], -1
	s_cbranch_scc0 .LBB18_976
; %bb.971:
	v_trunc_f32_e32 v1, v0
	v_mul_f32_e32 v4, 0x2f800000, v1
	v_floor_f32_e32 v4, v4
	v_fmac_f32_e32 v1, 0xcf800000, v4
	v_cvt_u32_f32_e32 v5, v4
	v_cvt_u32_f32_e32 v4, v1
	s_mov_b64 s[0:1], 0
	s_mov_b64 s[18:19], 0
	global_store_dwordx2 v[2:3], v[4:5], off
	s_branch .LBB18_977
.LBB18_972:
	s_or_b64 exec, exec, s[14:15]
	s_and_saveexec_b64 s[0:1], s[6:7]
	s_cbranch_execnz .LBB18_1035
.LBB18_973:
	s_or_b64 exec, exec, s[0:1]
	s_and_saveexec_b64 s[0:1], s[20:21]
	s_xor_b64 s[0:1], exec, s[0:1]
	s_cbranch_execz .LBB18_1036
.LBB18_974:
	v_cmp_neq_f32_e32 vcc, 0, v0
	v_cndmask_b32_e64 v1, 0, 1, vcc
	s_waitcnt vmcnt(0)
	global_store_byte v[2:3], v1, off
	s_or_b64 exec, exec, s[0:1]
	s_and_saveexec_b64 s[0:1], s[18:19]
	s_xor_b64 s[0:1], exec, s[0:1]
	s_cbranch_execz .LBB18_1074
	s_branch .LBB18_1037
.LBB18_975:
	s_mov_b64 s[20:21], 0
	s_mov_b64 s[18:19], -1
	s_mov_b64 s[0:1], s[6:7]
	s_branch .LBB18_1034
.LBB18_976:
	s_mov_b64 s[18:19], 0
.LBB18_977:
	s_and_b64 vcc, exec, s[18:19]
	s_cbranch_vccz .LBB18_992
; %bb.978:
	s_cmp_lt_i32 s27, 27
	s_mov_b64 s[18:19], -1
	s_cbranch_scc1 .LBB18_984
; %bb.979:
	v_cvt_u32_f32_e32 v1, v0
	s_cmp_gt_i32 s27, 27
	s_cbranch_scc0 .LBB18_981
; %bb.980:
	s_mov_b64 s[18:19], 0
	global_store_dword v[2:3], v1, off
.LBB18_981:
	s_andn2_b64 vcc, exec, s[18:19]
	s_cbranch_vccnz .LBB18_983
; %bb.982:
	global_store_short v[2:3], v1, off
.LBB18_983:
	s_mov_b64 s[18:19], 0
.LBB18_984:
	s_andn2_b64 vcc, exec, s[18:19]
	s_cbranch_vccnz .LBB18_992
; %bb.985:
	v_and_b32_e32 v1, 0x7fffffff, v0
	s_mov_b32 s18, 0x43800000
	v_cmp_gt_u32_e32 vcc, s18, v1
	v_mov_b32_e32 v4, 0x80
	s_and_saveexec_b64 s[18:19], vcc
	s_cbranch_execz .LBB18_991
; %bb.986:
	s_mov_b32 s20, 0x3bffffff
	v_cmp_lt_u32_e32 vcc, s20, v1
	s_mov_b64 s[20:21], 0
                                        ; implicit-def: $vgpr1
	s_and_saveexec_b64 s[22:23], vcc
	s_xor_b64 s[22:23], exec, s[22:23]
	s_cbranch_execz .LBB18_1089
; %bb.987:
	v_bfe_u32 v1, v0, 20, 1
	s_mov_b32 s24, 0x487ffff
	v_add3_u32 v1, v0, v1, s24
	s_mov_b64 s[20:21], exec
	v_lshrrev_b32_e32 v1, 20, v1
	s_andn2_saveexec_b64 s[22:23], s[22:23]
	s_cbranch_execnz .LBB18_1090
.LBB18_988:
	s_or_b64 exec, exec, s[22:23]
	v_mov_b32_e32 v4, 0
	s_and_saveexec_b64 s[22:23], s[20:21]
.LBB18_989:
	v_lshrrev_b32_e32 v4, 24, v0
	s_movk_i32 s20, 0x80
	v_and_or_b32 v4, v4, s20, v1
.LBB18_990:
	s_or_b64 exec, exec, s[22:23]
.LBB18_991:
	s_or_b64 exec, exec, s[18:19]
	global_store_byte v[2:3], v4, off
.LBB18_992:
	s_mov_b64 s[20:21], 0
.LBB18_993:
	s_mov_b64 s[18:19], 0
	s_and_b64 vcc, exec, s[20:21]
	s_cbranch_vccz .LBB18_1033
; %bb.994:
	s_cmp_gt_i32 s27, 22
	s_mov_b64 s[20:21], -1
	s_cbranch_scc0 .LBB18_1026
; %bb.995:
	s_cmp_lt_i32 s27, 24
	s_cbranch_scc1 .LBB18_1015
; %bb.996:
	s_cmp_gt_i32 s27, 24
	s_cbranch_scc0 .LBB18_1004
; %bb.997:
	v_and_b32_e32 v1, 0x7fffffff, v0
	s_mov_b32 s20, 0x47800000
	v_cmp_gt_u32_e32 vcc, s20, v1
	v_mov_b32_e32 v4, 0x80
	s_and_saveexec_b64 s[20:21], vcc
	s_cbranch_execz .LBB18_1003
; %bb.998:
	s_mov_b32 s22, 0x37ffffff
	v_cmp_lt_u32_e32 vcc, s22, v1
	s_mov_b64 s[22:23], 0
                                        ; implicit-def: $vgpr1
	s_and_saveexec_b64 s[24:25], vcc
	s_xor_b64 s[24:25], exec, s[24:25]
	s_cbranch_execz .LBB18_1226
; %bb.999:
	v_bfe_u32 v1, v0, 21, 1
	s_mov_b32 s28, 0x88fffff
	v_add3_u32 v1, v0, v1, s28
	s_mov_b64 s[22:23], exec
	v_lshrrev_b32_e32 v1, 21, v1
	s_andn2_saveexec_b64 s[24:25], s[24:25]
	s_cbranch_execnz .LBB18_1227
.LBB18_1000:
	s_or_b64 exec, exec, s[24:25]
	v_mov_b32_e32 v4, 0
	s_and_saveexec_b64 s[24:25], s[22:23]
.LBB18_1001:
	v_lshrrev_b32_e32 v4, 24, v0
	s_movk_i32 s22, 0x80
	v_and_or_b32 v4, v4, s22, v1
.LBB18_1002:
	s_or_b64 exec, exec, s[24:25]
.LBB18_1003:
	s_or_b64 exec, exec, s[20:21]
	s_mov_b64 s[20:21], 0
	global_store_byte v[2:3], v4, off
.LBB18_1004:
	s_and_b64 vcc, exec, s[20:21]
	s_cbranch_vccz .LBB18_1014
; %bb.1005:
	v_and_b32_e32 v4, 0x7fffffff, v0
	s_mov_b32 s20, 0x43f00000
	v_cmp_gt_u32_e32 vcc, s20, v4
                                        ; implicit-def: $vgpr1
	s_and_saveexec_b64 s[20:21], vcc
	s_xor_b64 s[20:21], exec, s[20:21]
	s_cbranch_execz .LBB18_1011
; %bb.1006:
	s_mov_b32 s22, 0x3c7fffff
	v_cmp_lt_u32_e32 vcc, s22, v4
                                        ; implicit-def: $vgpr1
	s_and_saveexec_b64 s[22:23], vcc
	s_xor_b64 s[22:23], exec, s[22:23]
; %bb.1007:
	v_bfe_u32 v1, v0, 20, 1
	s_mov_b32 s24, 0x407ffff
	v_add3_u32 v1, v0, v1, s24
	v_lshrrev_b32_e32 v4, 20, v1
	v_and_b32_e32 v1, 0xff00000, v1
	s_mov_b32 s24, 0x7f00000
	v_mov_b32_e32 v5, 0x7e
	v_cmp_ne_u32_e32 vcc, s24, v1
	v_cndmask_b32_e32 v1, v5, v4, vcc
; %bb.1008:
	s_andn2_saveexec_b64 s[22:23], s[22:23]
; %bb.1009:
	s_mov_b32 s24, 0x46800000
	v_add_f32_e64 v1, |v0|, s24
; %bb.1010:
	s_or_b64 exec, exec, s[22:23]
                                        ; implicit-def: $vgpr4
.LBB18_1011:
	s_andn2_saveexec_b64 s[20:21], s[20:21]
; %bb.1012:
	s_mov_b32 s22, 0x7f800000
	v_mov_b32_e32 v1, 0x7e
	v_mov_b32_e32 v5, 0x7f
	v_cmp_lt_u32_e32 vcc, s22, v4
	v_cndmask_b32_e32 v1, v1, v5, vcc
; %bb.1013:
	s_or_b64 exec, exec, s[20:21]
	v_lshrrev_b32_e32 v4, 24, v0
	s_movk_i32 s20, 0x80
	v_and_or_b32 v1, v4, s20, v1
	global_store_byte v[2:3], v1, off
.LBB18_1014:
	s_mov_b64 s[20:21], 0
.LBB18_1015:
	s_andn2_b64 vcc, exec, s[20:21]
	s_cbranch_vccnz .LBB18_1025
; %bb.1016:
	v_and_b32_e32 v4, 0x7fffffff, v0
	s_mov_b32 s20, 0x47800000
	v_cmp_gt_u32_e32 vcc, s20, v4
                                        ; implicit-def: $vgpr1
	s_and_saveexec_b64 s[20:21], vcc
	s_xor_b64 s[20:21], exec, s[20:21]
	s_cbranch_execz .LBB18_1022
; %bb.1017:
	s_mov_b32 s22, 0x387fffff
	v_cmp_lt_u32_e32 vcc, s22, v4
                                        ; implicit-def: $vgpr1
	s_and_saveexec_b64 s[22:23], vcc
	s_xor_b64 s[22:23], exec, s[22:23]
; %bb.1018:
	v_bfe_u32 v1, v0, 21, 1
	s_mov_b32 s24, 0x80fffff
	v_add3_u32 v1, v0, v1, s24
	v_lshrrev_b32_e32 v1, 21, v1
; %bb.1019:
	s_andn2_saveexec_b64 s[22:23], s[22:23]
; %bb.1020:
	s_mov_b32 s24, 0x43000000
	v_add_f32_e64 v1, |v0|, s24
; %bb.1021:
	s_or_b64 exec, exec, s[22:23]
                                        ; implicit-def: $vgpr4
.LBB18_1022:
	s_andn2_saveexec_b64 s[20:21], s[20:21]
; %bb.1023:
	s_mov_b32 s22, 0x7f800000
	v_mov_b32_e32 v1, 0x7c
	v_mov_b32_e32 v5, 0x7f
	v_cmp_lt_u32_e32 vcc, s22, v4
	v_cndmask_b32_e32 v1, v1, v5, vcc
; %bb.1024:
	s_or_b64 exec, exec, s[20:21]
	v_lshrrev_b32_e32 v4, 24, v0
	s_movk_i32 s20, 0x80
	v_and_or_b32 v1, v4, s20, v1
	global_store_byte v[2:3], v1, off
.LBB18_1025:
	s_mov_b64 s[20:21], 0
.LBB18_1026:
	s_andn2_b64 vcc, exec, s[20:21]
	s_mov_b64 s[20:21], 0
	s_cbranch_vccnz .LBB18_1034
; %bb.1027:
	s_cmp_gt_i32 s27, 14
	s_mov_b64 s[22:23], -1
	s_cbranch_scc0 .LBB18_1031
; %bb.1028:
	s_cmp_eq_u32 s27, 15
	s_mov_b64 s[0:1], -1
	s_cbranch_scc0 .LBB18_1030
; %bb.1029:
	v_bfe_u32 v1, v0, 16, 1
	s_movk_i32 s0, 0x7fff
	v_add3_u32 v1, v0, v1, s0
	v_cmp_o_f32_e32 vcc, v0, v0
	v_mov_b32_e32 v4, 0x7fc0
	v_cndmask_b32_sdwa v1, v4, v1, vcc dst_sel:DWORD dst_unused:UNUSED_PAD src0_sel:DWORD src1_sel:WORD_1
	global_store_short v[2:3], v1, off
	s_mov_b64 s[0:1], 0
.LBB18_1030:
	s_mov_b64 s[22:23], 0
.LBB18_1031:
	s_and_b64 vcc, exec, s[22:23]
	s_cbranch_vccz .LBB18_1034
; %bb.1032:
	s_cmp_lg_u32 s27, 11
	s_cselect_b64 s[22:23], -1, 0
	s_andn2_b64 s[0:1], s[0:1], exec
	s_and_b64 s[22:23], s[22:23], exec
	s_mov_b64 s[20:21], -1
	s_or_b64 s[0:1], s[0:1], s[22:23]
	s_branch .LBB18_1034
.LBB18_1033:
	s_mov_b64 s[20:21], 0
.LBB18_1034:
	s_andn2_b64 s[6:7], s[6:7], exec
	s_and_b64 s[0:1], s[0:1], exec
	s_and_b64 s[18:19], s[18:19], exec
	;; [unrolled: 1-line block ×3, first 2 shown]
	s_or_b64 s[6:7], s[6:7], s[0:1]
	s_or_b64 exec, exec, s[14:15]
	s_and_saveexec_b64 s[0:1], s[6:7]
	s_cbranch_execz .LBB18_973
.LBB18_1035:
	s_or_b64 s[16:17], s[16:17], exec
	s_andn2_b64 s[20:21], s[20:21], exec
	s_trap 2
	s_or_b64 exec, exec, s[0:1]
	s_and_saveexec_b64 s[0:1], s[20:21]
	s_xor_b64 s[0:1], exec, s[0:1]
	s_cbranch_execnz .LBB18_974
.LBB18_1036:
	s_or_b64 exec, exec, s[0:1]
	s_and_saveexec_b64 s[0:1], s[18:19]
	s_xor_b64 s[0:1], exec, s[0:1]
	s_cbranch_execz .LBB18_1074
.LBB18_1037:
	s_sext_i32_i16 s14, s26
	s_cmp_lt_i32 s14, 5
	s_mov_b64 s[6:7], -1
	s_cbranch_scc1 .LBB18_1058
; %bb.1038:
	s_cmp_lt_i32 s14, 8
	s_cbranch_scc1 .LBB18_1048
; %bb.1039:
	s_cmp_lt_i32 s14, 9
	s_cbranch_scc1 .LBB18_1045
; %bb.1040:
	s_cmp_gt_i32 s14, 9
	s_cbranch_scc0 .LBB18_1042
; %bb.1041:
	s_waitcnt vmcnt(0)
	v_cvt_f64_f32_e32 v[4:5], v0
	v_mov_b32_e32 v6, 0
	v_mov_b32_e32 v7, v6
	s_mov_b64 s[6:7], 0
	global_store_dwordx4 v[2:3], v[4:7], off
.LBB18_1042:
	s_andn2_b64 vcc, exec, s[6:7]
	s_cbranch_vccnz .LBB18_1044
; %bb.1043:
	v_mov_b32_e32 v1, 0
	s_waitcnt vmcnt(0)
	global_store_dwordx2 v[2:3], v[0:1], off
.LBB18_1044:
	s_mov_b64 s[6:7], 0
.LBB18_1045:
	s_andn2_b64 vcc, exec, s[6:7]
	s_cbranch_vccnz .LBB18_1047
; %bb.1046:
	v_cvt_f16_f32_e32 v1, v0
	s_waitcnt vmcnt(0)
	global_store_dword v[2:3], v1, off
.LBB18_1047:
	s_mov_b64 s[6:7], 0
.LBB18_1048:
	s_andn2_b64 vcc, exec, s[6:7]
	s_cbranch_vccnz .LBB18_1057
; %bb.1049:
	s_sext_i32_i16 s14, s26
	s_cmp_lt_i32 s14, 6
	s_mov_b64 s[6:7], -1
	s_cbranch_scc1 .LBB18_1055
; %bb.1050:
	s_cmp_gt_i32 s14, 6
	s_cbranch_scc0 .LBB18_1052
; %bb.1051:
	s_waitcnt vmcnt(0)
	v_cvt_f64_f32_e32 v[4:5], v0
	s_mov_b64 s[6:7], 0
	global_store_dwordx2 v[2:3], v[4:5], off
.LBB18_1052:
	s_andn2_b64 vcc, exec, s[6:7]
	s_cbranch_vccnz .LBB18_1054
; %bb.1053:
	s_waitcnt vmcnt(0)
	global_store_dword v[2:3], v0, off
.LBB18_1054:
	s_mov_b64 s[6:7], 0
.LBB18_1055:
	s_andn2_b64 vcc, exec, s[6:7]
	s_cbranch_vccnz .LBB18_1057
; %bb.1056:
	v_cvt_f16_f32_e32 v1, v0
	s_waitcnt vmcnt(0)
	global_store_short v[2:3], v1, off
.LBB18_1057:
	s_mov_b64 s[6:7], 0
.LBB18_1058:
	s_andn2_b64 vcc, exec, s[6:7]
	s_cbranch_vccnz .LBB18_1074
; %bb.1059:
	s_sext_i32_i16 s14, s26
	s_cmp_lt_i32 s14, 2
	s_mov_b64 s[6:7], -1
	s_cbranch_scc1 .LBB18_1069
; %bb.1060:
	s_cmp_lt_i32 s14, 3
	s_cbranch_scc1 .LBB18_1066
; %bb.1061:
	s_cmp_gt_i32 s14, 3
	s_cbranch_scc0 .LBB18_1063
; %bb.1062:
	v_trunc_f32_e32 v1, v0
	s_mov_b32 s6, 0x2f800000
	s_waitcnt vmcnt(0)
	v_mul_f32_e64 v4, |v1|, s6
	v_floor_f32_e32 v4, v4
	s_mov_b32 s6, 0xcf800000
	v_cvt_u32_f32_e32 v5, v4
	v_fma_f32 v4, v4, s6, |v1|
	v_cvt_u32_f32_e32 v4, v4
	v_ashrrev_i32_e32 v1, 31, v1
	v_xor_b32_e32 v5, v5, v1
	s_mov_b64 s[6:7], 0
	v_xor_b32_e32 v4, v4, v1
	v_sub_co_u32_e32 v4, vcc, v4, v1
	v_subb_co_u32_e32 v5, vcc, v5, v1, vcc
	global_store_dwordx2 v[2:3], v[4:5], off
.LBB18_1063:
	s_andn2_b64 vcc, exec, s[6:7]
	s_cbranch_vccnz .LBB18_1065
; %bb.1064:
	v_cvt_i32_f32_e32 v1, v0
	s_waitcnt vmcnt(0)
	global_store_dword v[2:3], v1, off
.LBB18_1065:
	s_mov_b64 s[6:7], 0
.LBB18_1066:
	s_andn2_b64 vcc, exec, s[6:7]
	s_cbranch_vccnz .LBB18_1068
; %bb.1067:
	v_cvt_i32_f32_e32 v1, v0
	s_waitcnt vmcnt(0)
	global_store_short v[2:3], v1, off
.LBB18_1068:
	s_mov_b64 s[6:7], 0
.LBB18_1069:
	s_andn2_b64 vcc, exec, s[6:7]
	s_cbranch_vccnz .LBB18_1074
; %bb.1070:
	s_sext_i32_i16 s6, s26
	s_cmp_gt_i32 s6, 0
	s_mov_b64 s[6:7], -1
	s_cbranch_scc0 .LBB18_1072
; %bb.1071:
	v_cvt_i32_f32_e32 v1, v0
	s_mov_b64 s[6:7], 0
	s_waitcnt vmcnt(0)
	global_store_byte v[2:3], v1, off
.LBB18_1072:
	s_andn2_b64 vcc, exec, s[6:7]
	s_cbranch_vccnz .LBB18_1074
; %bb.1073:
	v_trunc_f32_e32 v0, v0
	s_mov_b32 s6, 0x2f800000
	v_mul_f32_e64 v1, |v0|, s6
	v_floor_f32_e32 v1, v1
	s_mov_b32 s6, 0xcf800000
	v_fma_f32 v1, v1, s6, |v0|
	v_cvt_u32_f32_e32 v1, v1
	v_ashrrev_i32_e32 v0, 31, v0
	v_xor_b32_e32 v1, v1, v0
	v_sub_u32_e32 v0, v1, v0
	s_waitcnt vmcnt(0)
	global_store_byte v[2:3], v0, off
.LBB18_1074:
	s_or_b64 exec, exec, s[0:1]
	s_and_b64 s[6:7], s[16:17], exec
                                        ; implicit-def: $vgpr7
.LBB18_1075:
	s_or_saveexec_b64 s[4:5], s[4:5]
	s_mov_b64 s[0:1], 0
                                        ; implicit-def: $sgpr20
                                        ; implicit-def: $vgpr0_vgpr1
                                        ; implicit-def: $vgpr6
	s_xor_b64 exec, exec, s[4:5]
	s_cbranch_execz .LBB18_1717
; %bb.1076:
	s_waitcnt vmcnt(0)
	v_mul_lo_u32 v2, s3, v7
	v_mov_b32_e32 v1, s11
	s_and_b32 s22, 0xffff, s42
	s_cmp_lt_i32 s22, 11
	v_ashrrev_i32_e32 v3, 31, v2
	v_add_co_u32_e32 v0, vcc, s10, v2
	v_addc_co_u32_e32 v1, vcc, v1, v3, vcc
	s_cbranch_scc1 .LBB18_1083
; %bb.1077:
	s_cmp_gt_i32 s22, 25
	s_cbranch_scc0 .LBB18_1085
; %bb.1078:
	s_cmp_gt_i32 s22, 28
	s_cbranch_scc0 .LBB18_1086
	;; [unrolled: 3-line block ×4, first 2 shown]
; %bb.1081:
	s_cmp_eq_u32 s22, 46
	s_mov_b64 s[14:15], 0
	s_cbranch_scc0 .LBB18_1091
; %bb.1082:
	global_load_dword v3, v[0:1], off
	s_mov_b64 s[16:17], -1
	s_waitcnt vmcnt(0)
	v_lshlrev_b32_e32 v3, 16, v3
	s_branch .LBB18_1092
.LBB18_1083:
	s_mov_b64 s[16:17], 0
                                        ; implicit-def: $vgpr3
	s_mov_b64 s[14:15], s[6:7]
	s_cbranch_execnz .LBB18_1155
.LBB18_1084:
	s_andn2_b64 vcc, exec, s[16:17]
	s_cbranch_vccz .LBB18_1200
	s_branch .LBB18_1714
.LBB18_1085:
	s_mov_b64 s[16:17], 0
                                        ; implicit-def: $vgpr3
	s_cbranch_execnz .LBB18_1120
	s_branch .LBB18_1151
.LBB18_1086:
	s_mov_b64 s[14:15], -1
	s_mov_b64 s[16:17], 0
                                        ; implicit-def: $vgpr3
	s_branch .LBB18_1101
.LBB18_1087:
	s_mov_b64 s[16:17], 0
                                        ; implicit-def: $vgpr3
	s_cbranch_execnz .LBB18_1097
	s_branch .LBB18_1100
.LBB18_1088:
	s_mov_b64 s[14:15], -1
	s_mov_b64 s[16:17], 0
                                        ; implicit-def: $vgpr3
	s_branch .LBB18_1092
.LBB18_1089:
	s_andn2_saveexec_b64 s[22:23], s[22:23]
	s_cbranch_execz .LBB18_988
.LBB18_1090:
	s_mov_b32 s24, 0x46000000
	v_add_f32_e64 v1, |v0|, s24
	v_and_b32_e32 v1, 0xff, v1
	v_cmp_ne_u32_e32 vcc, 0, v1
	s_andn2_b64 s[20:21], s[20:21], exec
	s_and_b64 s[24:25], vcc, exec
	s_or_b64 s[20:21], s[20:21], s[24:25]
	s_or_b64 exec, exec, s[22:23]
	v_mov_b32_e32 v4, 0
	s_and_saveexec_b64 s[22:23], s[20:21]
	s_cbranch_execnz .LBB18_989
	s_branch .LBB18_990
.LBB18_1091:
	s_mov_b64 s[0:1], -1
                                        ; implicit-def: $vgpr3
	s_mov_b64 s[16:17], 0
.LBB18_1092:
	s_and_b64 vcc, exec, s[14:15]
	s_cbranch_vccz .LBB18_1095
; %bb.1093:
	s_cmp_eq_u32 s22, 44
	s_cbranch_scc0 .LBB18_1096
; %bb.1094:
	global_load_ubyte v3, v[0:1], off
	s_movk_i32 s14, 0xff
	v_mov_b32_e32 v4, 0x7f800001
	v_mov_b32_e32 v5, 0x400000
	s_mov_b64 s[0:1], 0
	s_mov_b64 s[16:17], -1
	s_waitcnt vmcnt(0)
	v_lshlrev_b32_e32 v6, 23, v3
	v_cmp_ne_u32_e32 vcc, s14, v3
	v_cndmask_b32_e32 v4, v4, v6, vcc
	v_cmp_ne_u32_e32 vcc, 0, v3
	v_cndmask_b32_e32 v3, v5, v4, vcc
.LBB18_1095:
	s_branch .LBB18_1100
.LBB18_1096:
	s_mov_b64 s[0:1], -1
                                        ; implicit-def: $vgpr3
	s_branch .LBB18_1100
.LBB18_1097:
	s_cmp_eq_u32 s22, 29
	s_cbranch_scc0 .LBB18_1099
; %bb.1098:
	global_load_dwordx2 v[3:4], v[0:1], off
	s_mov_b64 s[0:1], 0
	s_mov_b64 s[16:17], -1
	s_mov_b64 s[14:15], 0
	s_waitcnt vmcnt(0)
	v_ffbh_u32_e32 v5, v4
	v_min_u32_e32 v5, 32, v5
	v_lshlrev_b64 v[3:4], v5, v[3:4]
	v_min_u32_e32 v3, 1, v3
	v_or_b32_e32 v3, v4, v3
	v_cvt_f32_u32_e32 v3, v3
	v_sub_u32_e32 v4, 32, v5
	v_ldexp_f32 v3, v3, v4
	s_branch .LBB18_1101
.LBB18_1099:
	s_mov_b64 s[0:1], -1
                                        ; implicit-def: $vgpr3
.LBB18_1100:
	s_mov_b64 s[14:15], 0
.LBB18_1101:
	s_and_b64 vcc, exec, s[14:15]
	s_cbranch_vccz .LBB18_1119
; %bb.1102:
	s_cmp_lt_i32 s22, 27
	s_cbranch_scc1 .LBB18_1105
; %bb.1103:
	s_cmp_gt_i32 s22, 27
	s_cbranch_scc0 .LBB18_1106
; %bb.1104:
	global_load_dword v3, v[0:1], off
	s_mov_b64 s[14:15], 0
	s_waitcnt vmcnt(0)
	v_cvt_f32_u32_e32 v3, v3
	s_branch .LBB18_1107
.LBB18_1105:
	s_mov_b64 s[14:15], -1
                                        ; implicit-def: $vgpr3
	s_branch .LBB18_1110
.LBB18_1106:
	s_mov_b64 s[14:15], -1
                                        ; implicit-def: $vgpr3
.LBB18_1107:
	s_andn2_b64 vcc, exec, s[14:15]
	s_cbranch_vccnz .LBB18_1109
; %bb.1108:
	global_load_ushort v3, v[0:1], off
	s_waitcnt vmcnt(0)
	v_cvt_f32_u32_e32 v3, v3
.LBB18_1109:
	s_mov_b64 s[14:15], 0
.LBB18_1110:
	s_andn2_b64 vcc, exec, s[14:15]
	s_cbranch_vccnz .LBB18_1118
; %bb.1111:
	global_load_ubyte v4, v[0:1], off
	s_movk_i32 s14, 0x7f
	s_waitcnt vmcnt(0)
	v_cmp_lt_i16_e32 vcc, s14, v4
	s_mov_b64 s[14:15], 0
	s_and_saveexec_b64 s[16:17], vcc
	s_xor_b64 s[16:17], exec, s[16:17]
	s_cbranch_execz .LBB18_1131
; %bb.1112:
	s_movk_i32 s14, 0x80
	v_cmp_eq_u16_e32 vcc, s14, v4
	s_mov_b64 s[14:15], -1
	s_and_saveexec_b64 s[18:19], vcc
; %bb.1113:
	s_xor_b64 s[14:15], exec, -1
; %bb.1114:
	s_or_b64 exec, exec, s[18:19]
	s_and_b64 s[14:15], s[14:15], exec
	s_or_saveexec_b64 s[16:17], s[16:17]
	v_mov_b32_e32 v3, 0x7f800001
	s_xor_b64 exec, exec, s[16:17]
	s_cbranch_execnz .LBB18_1132
.LBB18_1115:
	s_or_b64 exec, exec, s[16:17]
	s_and_saveexec_b64 s[16:17], s[14:15]
	s_cbranch_execz .LBB18_1117
.LBB18_1116:
	v_lshlrev_b32_e32 v3, 24, v4
	v_and_b32_e32 v4, 0xffff, v4
	v_and_b32_e32 v5, 7, v4
	v_ffbh_u32_e32 v8, v5
	v_min_u32_e32 v8, 32, v8
	v_subrev_u32_e32 v9, 28, v8
	v_bfe_u32 v6, v4, 3, 4
	v_lshlrev_b32_e32 v4, v9, v4
	v_sub_u32_e32 v8, 29, v8
	v_and_b32_e32 v4, 7, v4
	v_cmp_eq_u32_e32 vcc, 0, v6
	v_cndmask_b32_e32 v6, v6, v8, vcc
	v_cndmask_b32_e32 v4, v5, v4, vcc
	v_mov_b32_e32 v5, 0x3b800000
	v_lshlrev_b32_e32 v4, 20, v4
	v_and_b32_e32 v3, 0x80000000, v3
	v_lshl_add_u32 v5, v6, 23, v5
	v_or3_b32 v3, v3, v5, v4
.LBB18_1117:
	s_or_b64 exec, exec, s[16:17]
.LBB18_1118:
	s_mov_b64 s[16:17], -1
.LBB18_1119:
	s_branch .LBB18_1151
.LBB18_1120:
	s_cmp_gt_i32 s22, 22
	s_cbranch_scc0 .LBB18_1130
; %bb.1121:
	s_cmp_lt_i32 s22, 24
	s_cbranch_scc1 .LBB18_1133
; %bb.1122:
	s_cmp_gt_i32 s22, 24
	s_cbranch_scc0 .LBB18_1134
; %bb.1123:
	global_load_ubyte v4, v[0:1], off
	s_movk_i32 s12, 0x7f
	s_waitcnt vmcnt(0)
	v_cmp_lt_i16_e32 vcc, s12, v4
	s_mov_b64 s[12:13], 0
	s_and_saveexec_b64 s[14:15], vcc
	s_xor_b64 s[14:15], exec, s[14:15]
	s_cbranch_execz .LBB18_1145
; %bb.1124:
	s_movk_i32 s12, 0x80
	v_cmp_eq_u16_e32 vcc, s12, v4
	s_mov_b64 s[12:13], -1
	s_and_saveexec_b64 s[16:17], vcc
; %bb.1125:
	s_xor_b64 s[12:13], exec, -1
; %bb.1126:
	s_or_b64 exec, exec, s[16:17]
	s_and_b64 s[12:13], s[12:13], exec
	s_or_saveexec_b64 s[14:15], s[14:15]
	v_mov_b32_e32 v3, 0x7f800001
	s_xor_b64 exec, exec, s[14:15]
	s_cbranch_execnz .LBB18_1146
.LBB18_1127:
	s_or_b64 exec, exec, s[14:15]
	s_and_saveexec_b64 s[14:15], s[12:13]
	s_cbranch_execz .LBB18_1129
.LBB18_1128:
	v_lshlrev_b32_e32 v3, 24, v4
	v_and_b32_e32 v4, 0xffff, v4
	v_and_b32_e32 v5, 3, v4
	v_ffbh_u32_e32 v8, v5
	v_min_u32_e32 v8, 32, v8
	v_subrev_u32_e32 v9, 29, v8
	v_bfe_u32 v6, v4, 2, 5
	v_lshlrev_b32_e32 v4, v9, v4
	v_sub_u32_e32 v8, 30, v8
	v_and_b32_e32 v4, 3, v4
	v_cmp_eq_u32_e32 vcc, 0, v6
	v_cndmask_b32_e32 v6, v6, v8, vcc
	v_cndmask_b32_e32 v4, v5, v4, vcc
	v_mov_b32_e32 v5, 0x37800000
	v_lshlrev_b32_e32 v4, 21, v4
	v_and_b32_e32 v3, 0x80000000, v3
	v_lshl_add_u32 v5, v6, 23, v5
	v_or3_b32 v3, v3, v5, v4
.LBB18_1129:
	s_or_b64 exec, exec, s[14:15]
	s_mov_b64 s[12:13], 0
	s_branch .LBB18_1135
.LBB18_1130:
                                        ; implicit-def: $vgpr3
	s_mov_b64 s[12:13], 0
	s_branch .LBB18_1141
.LBB18_1131:
	s_or_saveexec_b64 s[16:17], s[16:17]
	v_mov_b32_e32 v3, 0x7f800001
	s_xor_b64 exec, exec, s[16:17]
	s_cbranch_execz .LBB18_1115
.LBB18_1132:
	v_cmp_ne_u16_e32 vcc, 0, v4
	s_andn2_b64 s[14:15], s[14:15], exec
	s_and_b64 s[18:19], vcc, exec
	v_mov_b32_e32 v3, 0
	s_or_b64 s[14:15], s[14:15], s[18:19]
	s_or_b64 exec, exec, s[16:17]
	s_and_saveexec_b64 s[16:17], s[14:15]
	s_cbranch_execnz .LBB18_1116
	s_branch .LBB18_1117
.LBB18_1133:
	s_mov_b64 s[12:13], -1
                                        ; implicit-def: $vgpr3
	s_branch .LBB18_1138
.LBB18_1134:
	s_mov_b64 s[12:13], -1
                                        ; implicit-def: $vgpr3
.LBB18_1135:
	s_and_b64 vcc, exec, s[12:13]
	s_cbranch_vccz .LBB18_1137
; %bb.1136:
	global_load_ubyte v3, v[0:1], off
	s_mov_b32 s12, 0x7f800000
	s_waitcnt vmcnt(0)
	v_lshlrev_b32_e32 v3, 24, v3
	v_and_b32_e32 v4, 0x7f000000, v3
	v_ffbh_u32_e32 v5, v4
	v_min_u32_e32 v5, 32, v5
	v_sub_u32_e64 v5, v5, 4 clamp
	v_lshlrev_b32_e32 v8, v5, v4
	v_lshlrev_b32_e32 v5, 23, v5
	v_lshrrev_b32_e32 v8, 4, v8
	v_add_u32_e32 v6, 0x1000000, v4
	v_sub_u32_e32 v5, v8, v5
	v_ashrrev_i32_e32 v6, 8, v6
	v_add_u32_e32 v5, 0x3c000000, v5
	v_and_or_b32 v5, v6, s12, v5
	v_cmp_ne_u32_e32 vcc, 0, v4
	v_cndmask_b32_e32 v4, 0, v5, vcc
	s_brev_b32 s12, 1
	v_and_or_b32 v3, v3, s12, v4
.LBB18_1137:
	s_mov_b64 s[12:13], 0
.LBB18_1138:
	s_andn2_b64 vcc, exec, s[12:13]
	s_cbranch_vccnz .LBB18_1140
; %bb.1139:
	global_load_ubyte v3, v[0:1], off
	s_movk_i32 s12, 0x7f00
	s_brev_b32 s13, 16
	s_waitcnt vmcnt(0)
	v_lshlrev_b16_e32 v4, 8, v3
	v_lshlrev_b32_e32 v3, 25, v3
	v_lshrrev_b32_e32 v5, 4, v3
	v_and_or_b32 v6, v4, s12, 0.5
	v_or_b32_e32 v5, 0x70000000, v5
	v_add_f32_e32 v6, -0.5, v6
	v_mul_f32_e32 v5, 0x7800000, v5
	v_cmp_gt_u32_e32 vcc, s13, v3
	v_bfe_i32 v4, v4, 0, 16
	v_cndmask_b32_e32 v3, v5, v6, vcc
	s_brev_b32 s12, 1
	v_and_or_b32 v3, v4, s12, v3
.LBB18_1140:
	s_mov_b64 s[16:17], -1
	s_mov_b64 s[12:13], 0
	s_cbranch_execnz .LBB18_1151
.LBB18_1141:
	s_cmp_gt_i32 s22, 14
	s_cbranch_scc0 .LBB18_1144
; %bb.1142:
	s_cmp_eq_u32 s22, 15
	s_cbranch_scc0 .LBB18_1147
; %bb.1143:
	global_load_ushort v3, v[0:1], off
	s_mov_b64 s[0:1], 0
	s_mov_b64 s[16:17], -1
	s_waitcnt vmcnt(0)
	v_lshlrev_b32_e32 v3, 16, v3
	s_branch .LBB18_1148
.LBB18_1144:
	s_mov_b64 s[14:15], -1
                                        ; implicit-def: $vgpr3
	s_branch .LBB18_1149
.LBB18_1145:
	s_or_saveexec_b64 s[14:15], s[14:15]
	v_mov_b32_e32 v3, 0x7f800001
	s_xor_b64 exec, exec, s[14:15]
	s_cbranch_execz .LBB18_1127
.LBB18_1146:
	v_cmp_ne_u16_e32 vcc, 0, v4
	s_andn2_b64 s[12:13], s[12:13], exec
	s_and_b64 s[16:17], vcc, exec
	v_mov_b32_e32 v3, 0
	s_or_b64 s[12:13], s[12:13], s[16:17]
	s_or_b64 exec, exec, s[14:15]
	s_and_saveexec_b64 s[14:15], s[12:13]
	s_cbranch_execnz .LBB18_1128
	s_branch .LBB18_1129
.LBB18_1147:
	s_mov_b64 s[0:1], -1
                                        ; implicit-def: $vgpr3
.LBB18_1148:
	s_mov_b64 s[14:15], 0
.LBB18_1149:
	s_and_b64 vcc, exec, s[14:15]
	s_cbranch_vccz .LBB18_1151
; %bb.1150:
	s_cmp_lg_u32 s22, 11
	s_mov_b64 s[12:13], -1
	s_cselect_b64 s[0:1], -1, 0
.LBB18_1151:
	s_and_b64 vcc, exec, s[0:1]
	s_mov_b64 s[14:15], s[6:7]
	s_cbranch_vccnz .LBB18_1224
; %bb.1152:
	s_andn2_b64 vcc, exec, s[12:13]
	s_cbranch_vccnz .LBB18_1154
.LBB18_1153:
	global_load_ubyte v3, v[0:1], off
	s_mov_b64 s[16:17], -1
	s_waitcnt vmcnt(0)
	v_cmp_ne_u16_e32 vcc, 0, v3
	v_cndmask_b32_e64 v3, 0, 1.0, vcc
.LBB18_1154:
	s_branch .LBB18_1084
.LBB18_1155:
	s_cmp_lt_i32 s22, 5
	s_cbranch_scc1 .LBB18_1160
; %bb.1156:
	s_cmp_lt_i32 s22, 8
	s_cbranch_scc1 .LBB18_1161
; %bb.1157:
	;; [unrolled: 3-line block ×3, first 2 shown]
	s_cmp_gt_i32 s22, 9
	s_cbranch_scc0 .LBB18_1163
; %bb.1159:
	global_load_dwordx2 v[3:4], v[0:1], off
	s_mov_b64 s[0:1], 0
	s_waitcnt vmcnt(0)
	v_cvt_f32_f64_e32 v3, v[3:4]
	s_branch .LBB18_1164
.LBB18_1160:
                                        ; implicit-def: $vgpr3
	s_branch .LBB18_1181
.LBB18_1161:
                                        ; implicit-def: $vgpr3
	s_branch .LBB18_1170
.LBB18_1162:
	s_mov_b64 s[0:1], -1
                                        ; implicit-def: $vgpr3
	s_branch .LBB18_1167
.LBB18_1163:
	s_mov_b64 s[0:1], -1
                                        ; implicit-def: $vgpr3
.LBB18_1164:
	s_andn2_b64 vcc, exec, s[0:1]
	s_cbranch_vccnz .LBB18_1166
; %bb.1165:
	global_load_dword v3, v[0:1], off
.LBB18_1166:
	s_mov_b64 s[0:1], 0
.LBB18_1167:
	s_andn2_b64 vcc, exec, s[0:1]
	s_cbranch_vccnz .LBB18_1169
; %bb.1168:
	global_load_dword v3, v[0:1], off
	s_waitcnt vmcnt(0)
	v_cvt_f32_f16_e32 v3, v3
.LBB18_1169:
	s_cbranch_execnz .LBB18_1180
.LBB18_1170:
	s_cmp_lt_i32 s22, 6
	s_cbranch_scc1 .LBB18_1173
; %bb.1171:
	s_cmp_gt_i32 s22, 6
	s_cbranch_scc0 .LBB18_1174
; %bb.1172:
	global_load_dwordx2 v[3:4], v[0:1], off
	s_mov_b64 s[0:1], 0
	s_waitcnt vmcnt(0)
	v_cvt_f32_f64_e32 v3, v[3:4]
	s_branch .LBB18_1175
.LBB18_1173:
	s_mov_b64 s[0:1], -1
                                        ; implicit-def: $vgpr3
	s_branch .LBB18_1178
.LBB18_1174:
	s_mov_b64 s[0:1], -1
                                        ; implicit-def: $vgpr3
.LBB18_1175:
	s_andn2_b64 vcc, exec, s[0:1]
	s_cbranch_vccnz .LBB18_1177
; %bb.1176:
	global_load_dword v3, v[0:1], off
.LBB18_1177:
	s_mov_b64 s[0:1], 0
.LBB18_1178:
	s_andn2_b64 vcc, exec, s[0:1]
	s_cbranch_vccnz .LBB18_1180
; %bb.1179:
	global_load_ushort v3, v[0:1], off
	s_waitcnt vmcnt(0)
	v_cvt_f32_f16_e32 v3, v3
.LBB18_1180:
	s_cbranch_execnz .LBB18_1199
.LBB18_1181:
	s_cmp_lt_i32 s22, 2
	s_cbranch_scc1 .LBB18_1185
; %bb.1182:
	s_cmp_lt_i32 s22, 3
	s_cbranch_scc1 .LBB18_1186
; %bb.1183:
	s_cmp_gt_i32 s22, 3
	s_cbranch_scc0 .LBB18_1187
; %bb.1184:
	global_load_dwordx2 v[3:4], v[0:1], off
	s_mov_b64 s[0:1], 0
	s_waitcnt vmcnt(0)
	v_xor_b32_e32 v6, v3, v4
	v_ffbh_i32_e32 v5, v4
	v_ashrrev_i32_e32 v6, 31, v6
	v_add_u32_e32 v5, -1, v5
	v_add_u32_e32 v6, 32, v6
	v_min_u32_e32 v5, v5, v6
	v_lshlrev_b64 v[3:4], v5, v[3:4]
	v_min_u32_e32 v3, 1, v3
	v_or_b32_e32 v3, v4, v3
	v_cvt_f32_i32_e32 v3, v3
	v_sub_u32_e32 v4, 32, v5
	v_ldexp_f32 v3, v3, v4
	s_branch .LBB18_1188
.LBB18_1185:
                                        ; implicit-def: $vgpr3
	s_branch .LBB18_1194
.LBB18_1186:
	s_mov_b64 s[0:1], -1
                                        ; implicit-def: $vgpr3
	s_branch .LBB18_1191
.LBB18_1187:
	s_mov_b64 s[0:1], -1
                                        ; implicit-def: $vgpr3
.LBB18_1188:
	s_andn2_b64 vcc, exec, s[0:1]
	s_cbranch_vccnz .LBB18_1190
; %bb.1189:
	global_load_dword v3, v[0:1], off
	s_waitcnt vmcnt(0)
	v_cvt_f32_i32_e32 v3, v3
.LBB18_1190:
	s_mov_b64 s[0:1], 0
.LBB18_1191:
	s_andn2_b64 vcc, exec, s[0:1]
	s_cbranch_vccnz .LBB18_1193
; %bb.1192:
	global_load_sshort v3, v[0:1], off
	s_waitcnt vmcnt(0)
	v_cvt_f32_i32_e32 v3, v3
.LBB18_1193:
	s_cbranch_execnz .LBB18_1199
.LBB18_1194:
	s_cmp_gt_i32 s22, 0
	s_cbranch_scc0 .LBB18_1196
; %bb.1195:
	global_load_sbyte v3, v[0:1], off
	s_mov_b64 s[0:1], 0
	s_waitcnt vmcnt(0)
	v_cvt_f32_i32_e32 v3, v3
	s_branch .LBB18_1197
.LBB18_1196:
	s_mov_b64 s[0:1], -1
                                        ; implicit-def: $vgpr3
.LBB18_1197:
	s_andn2_b64 vcc, exec, s[0:1]
	s_cbranch_vccnz .LBB18_1199
; %bb.1198:
	global_load_ubyte v0, v[0:1], off
	s_waitcnt vmcnt(0)
	v_cvt_f32_ubyte0_e32 v3, v0
.LBB18_1199:
.LBB18_1200:
	s_mov_b32 s0, 0x41000000
	s_waitcnt vmcnt(0)
	v_cmp_le_f32_e64 s[0:1], |v3|, s0
                                        ; implicit-def: $vgpr0
	s_and_saveexec_b64 s[12:13], s[0:1]
	s_xor_b64 s[12:13], exec, s[12:13]
	s_cbranch_execz .LBB18_1206
; %bb.1201:
	v_fma_f32 v0, |v3|, 0.5, -2.0
	v_mov_b32_e32 v1, 0xa3c2be86
	v_fmac_f32_e32 v1, 0x224cf950, v0
	v_mov_b32_e32 v4, 0xa24cf950
	v_fmac_f32_e32 v4, v0, v1
	v_add_f32_e32 v4, 0x25331f1f, v4
	v_fma_f32 v1, v0, v4, -v1
	v_add_f32_e32 v1, 0xa69f5554, v1
	v_fma_f32 v4, v0, v1, -v4
	v_add_f32_e32 v4, 0x2808ebf8, v4
	v_fma_f32 v1, v0, v4, -v1
	v_add_f32_e32 v1, 0xa9631471, v1
	v_fma_f32 v4, v0, v1, -v4
	v_add_f32_e32 v4, 0x2ab57bc2, v4
	v_fma_f32 v1, v0, v4, -v1
	v_add_f32_e32 v1, 0xac0b9c1b, v1
	v_fma_f32 v4, v0, v1, -v4
	v_add_f32_e32 v4, 0x2d4e7716, v4
	v_fma_f32 v1, v0, v4, -v1
	v_add_f32_e32 v1, 0xae92881d, v1
	v_fma_f32 v4, v0, v1, -v4
	v_add_f32_e32 v4, 0x2fc751a6, v4
	v_fma_f32 v1, v0, v4, -v1
	v_add_f32_e32 v1, 0xb101b0d9, v1
	v_fma_f32 v4, v0, v1, -v4
	v_add_f32_e32 v4, 0x32212c70, v4
	v_fma_f32 v1, v0, v4, -v1
	v_add_f32_e32 v1, 0xb33ee9f1, v1
	v_fma_f32 v4, v0, v1, -v4
	v_add_f32_e32 v4, 0x34571a26, v4
	v_fma_f32 v1, v0, v4, -v1
	v_add_f32_e32 v1, 0xb56603cc, v1
	v_fma_f32 v4, v0, v1, -v4
	v_add_f32_e32 v4, 0x3668e277, v4
	v_fma_f32 v1, v0, v4, -v1
	v_add_f32_e32 v1, 0xb75eafce, v1
	v_fma_f32 v4, v0, v1, -v4
	v_add_f32_e32 v4, 0x38488daa, v4
	v_fma_f32 v1, v0, v4, -v1
	v_add_f32_e32 v1, 0xb9299e57, v1
	v_fma_f32 v4, v0, v1, -v4
	v_add_f32_e32 v4, 0x3a064aee, v4
	v_fma_f32 v1, v0, v4, -v1
	v_add_f32_e32 v1, 0xbac66310, v1
	v_fma_f32 v4, v0, v1, -v4
	v_add_f32_e32 v4, 0x3b88329a, v4
	v_fma_f32 v1, v0, v4, -v1
	v_add_f32_e32 v1, 0xbc2d14fc, v1
	v_fma_f32 v4, v0, v1, -v4
	v_add_f32_e32 v4, 0x3cca8f1f, v4
	v_fma_f32 v1, v0, v4, -v1
	v_add_f32_e32 v1, 0xbd58dde3, v1
	v_fma_f32 v4, v0, v1, -v4
	v_add_f32_e32 v4, 0x3dd236d7, v4
	v_fma_f32 v1, v0, v4, -v1
	v_add_f32_e32 v1, 0xbe34a688, v1
	s_mov_b32 s0, 0x3fb8aa3b
	v_fma_f32 v0, v0, v1, -v4
	v_mul_f32_e64 v1, |v3|, s0
	v_rndne_f32_e32 v5, v1
	v_sub_f32_e32 v6, v1, v5
	v_fma_f32 v1, |v3|, s0, -v1
	s_mov_b32 s0, 0x32a5705f
	v_fma_f32 v1, |v3|, s0, v1
	v_add_f32_e32 v1, v6, v1
	v_exp_f32_e32 v6, v1
	v_cvt_i32_f32_e32 v5, v5
	v_add_f32_e32 v0, 0x3e81531c, v0
	v_sub_f32_e32 v0, v0, v4
	v_mul_f32_e32 v0, 0.5, v0
	s_mov_b32 s0, 0xc2ce8ed0
	v_mul_f32_e64 v1, |v3|, v0
	v_ldexp_f32 v0, v6, v5
	v_cmp_nlt_f32_e64 s[0:1], |v3|, s0
	v_cndmask_b32_e64 v0, 0, v0, s[0:1]
	s_mov_b32 s0, 0x42b17218
	v_mov_b32_e32 v4, 0x7f800000
	v_cmp_ngt_f32_e64 s[0:1], |v3|, s0
	v_cmp_ngt_f32_e32 vcc, 0, v3
	v_cndmask_b32_e64 v3, v4, v0, s[0:1]
                                        ; implicit-def: $vgpr0
	s_and_saveexec_b64 s[0:1], vcc
	s_xor_b64 s[0:1], exec, s[0:1]
; %bb.1202:
	v_mul_f32_e32 v0, v3, v1
                                        ; implicit-def: $vgpr3
                                        ; implicit-def: $vgpr1
; %bb.1203:
	s_andn2_saveexec_b64 s[0:1], s[0:1]
; %bb.1204:
	v_mul_f32_e64 v0, v1, -v3
; %bb.1205:
	s_or_b64 exec, exec, s[0:1]
                                        ; implicit-def: $vgpr3
.LBB18_1206:
	s_andn2_saveexec_b64 s[12:13], s[12:13]
	s_cbranch_execz .LBB18_1212
; %bb.1207:
	v_and_b32_e32 v0, 0x7fffffff, v3
	s_mov_b32 s16, 0x42000000
	v_div_scale_f32 v1, s[0:1], v0, v0, s16
	v_div_scale_f32 v0, vcc, s16, v0, s16
	s_mov_b32 s17, 0x3fb8aa3b
	s_mov_b32 s18, 0x32a5705f
	v_mov_b32_e32 v4, 0x22a2dc57
	v_mov_b32_e32 v6, 0xa30aab6e
	v_cmp_ngt_f32_e64 s[0:1], 0, v3
	v_rcp_f32_e32 v5, v1
	v_fma_f32 v8, -v1, v5, 1.0
	v_fmac_f32_e32 v5, v8, v5
	v_mul_f32_e32 v8, v0, v5
	v_fma_f32 v9, -v1, v8, v0
	v_fmac_f32_e32 v8, v9, v5
	v_fma_f32 v0, -v1, v8, v0
	v_div_fmas_f32 v0, v0, v5, v8
	v_mul_f32_e64 v1, |v3|, s17
	v_rndne_f32_e32 v5, v1
	v_fma_f32 v8, |v3|, s17, -v1
	v_sub_f32_e32 v1, v1, v5
	v_fma_f32 v8, |v3|, s18, v8
	v_add_f32_e32 v1, v1, v8
	v_cvt_i32_f32_e32 v5, v5
	v_exp_f32_e32 v1, v1
	s_mov_b32 s17, 0xc2ce8ed0
	s_mov_b32 s18, 0x42b17218
	v_cmp_nlt_f32_e64 vcc, |v3|, s17
	v_ldexp_f32 v1, v1, v5
	v_mov_b32_e32 v8, 0x7f800000
	v_cndmask_b32_e32 v1, 0, v1, vcc
	v_cmp_ngt_f32_e64 vcc, |v3|, s18
	v_div_fixup_f32 v0, v0, |v3|, s16
	v_add_f32_e32 v0, -2.0, v0
	v_fmac_f32_e32 v4, 0x230aab6e, v0
	v_fmac_f32_e32 v6, v0, v4
	v_add_f32_e32 v5, 0xa456751e, v6
	v_fma_f32 v4, v0, v5, -v4
	v_add_f32_e32 v4, 0xa4140365, v4
	v_fma_f32 v5, v0, v4, -v5
	;; [unrolled: 2-line block ×22, first 2 shown]
	v_add_f32_e32 v0, 0x3f4750c6, v0
	v_cndmask_b32_e32 v1, v8, v1, vcc
	v_sub_f32_e32 v4, v0, v5
                                        ; implicit-def: $vgpr0
	s_and_saveexec_b64 s[16:17], s[0:1]
	s_xor_b64 s[16:17], exec, s[16:17]
	s_cbranch_execz .LBB18_1209
; %bb.1208:
	s_mov_b32 s0, 0xf800000
	s_mov_b32 s1, 0x4f800000
	v_mul_f32_e64 v0, |v3|, s1
	v_cmp_lt_f32_e64 vcc, |v3|, s0
	v_cndmask_b32_e64 v0, |v3|, v0, vcc
	v_sqrt_f32_e32 v3, v0
	v_mul_f32_e32 v4, 0.5, v4
	v_mul_f32_e32 v1, v1, v4
	v_add_u32_e32 v4, -1, v3
	v_fma_f32 v5, -v4, v3, v0
	v_cmp_ge_f32_e64 s[0:1], 0, v5
	v_add_u32_e32 v5, 1, v3
	v_cndmask_b32_e64 v4, v3, v4, s[0:1]
	v_fma_f32 v3, -v5, v3, v0
	v_cmp_lt_f32_e64 s[0:1], 0, v3
	v_cndmask_b32_e64 v3, v4, v5, s[0:1]
	v_mul_f32_e32 v4, 0x37800000, v3
	v_cndmask_b32_e32 v3, v3, v4, vcc
	v_mov_b32_e32 v4, 0x260
	v_cmp_class_f32_e32 vcc, v0, v4
	v_cndmask_b32_e32 v0, v3, v0, vcc
	v_div_scale_f32 v3, s[0:1], v0, v0, v1
	v_div_scale_f32 v4, vcc, v1, v0, v1
	v_rcp_f32_e32 v5, v3
	v_fma_f32 v6, -v3, v5, 1.0
	v_fmac_f32_e32 v5, v6, v5
	v_mul_f32_e32 v6, v4, v5
	v_fma_f32 v8, -v3, v6, v4
	v_fmac_f32_e32 v6, v8, v5
	v_fma_f32 v3, -v3, v6, v4
	v_div_fmas_f32 v3, v3, v5, v6
                                        ; implicit-def: $vgpr4
	v_div_fixup_f32 v0, v3, v0, v1
                                        ; implicit-def: $vgpr3
                                        ; implicit-def: $vgpr1
.LBB18_1209:
	s_andn2_saveexec_b64 s[16:17], s[16:17]
	s_cbranch_execz .LBB18_1211
; %bb.1210:
	s_mov_b32 s0, 0xf800000
	s_mov_b32 s1, 0x4f800000
	v_mul_f32_e64 v0, |v3|, s1
	v_cmp_lt_f32_e64 vcc, |v3|, s0
	v_cndmask_b32_e64 v0, |v3|, v0, vcc
	v_sqrt_f32_e32 v3, v0
	v_add_u32_e32 v5, -1, v3
	v_fma_f32 v6, -v5, v3, v0
	v_cmp_ge_f32_e64 s[0:1], 0, v6
	v_add_u32_e32 v6, 1, v3
	v_cndmask_b32_e64 v5, v3, v5, s[0:1]
	v_fma_f32 v3, -v6, v3, v0
	v_cmp_lt_f32_e64 s[0:1], 0, v3
	v_cndmask_b32_e64 v3, v5, v6, s[0:1]
	v_mul_f32_e32 v5, 0x37800000, v3
	v_cndmask_b32_e32 v3, v3, v5, vcc
	v_mov_b32_e32 v5, 0x260
	v_cmp_class_f32_e32 vcc, v0, v5
	v_cndmask_b32_e32 v0, v3, v0, vcc
	v_mul_f32_e32 v3, -0.5, v4
	v_mul_f32_e32 v1, v1, v3
	v_div_scale_f32 v3, s[0:1], v0, v0, v1
	v_div_scale_f32 v4, vcc, v1, v0, v1
	v_rcp_f32_e32 v5, v3
	v_fma_f32 v6, -v3, v5, 1.0
	v_fmac_f32_e32 v5, v6, v5
	v_mul_f32_e32 v6, v4, v5
	v_fma_f32 v8, -v3, v6, v4
	v_fmac_f32_e32 v6, v8, v5
	v_fma_f32 v3, -v3, v6, v4
	v_div_fmas_f32 v3, v3, v5, v6
	v_div_fixup_f32 v0, v3, v0, v1
.LBB18_1211:
	s_or_b64 exec, exec, s[16:17]
.LBB18_1212:
	s_or_b64 exec, exec, s[12:13]
	s_lshl_b32 s3, s3, 7
	v_add_u32_e32 v3, s3, v2
	v_ashrrev_i32_e32 v2, 31, v3
	v_mov_b32_e32 v4, s11
	v_add_co_u32_e32 v1, vcc, s10, v3
	s_cmp_lt_i32 s22, 11
	v_addc_co_u32_e32 v2, vcc, v4, v2, vcc
	s_cbranch_scc1 .LBB18_1219
; %bb.1213:
	s_cmp_gt_i32 s22, 25
	s_mov_b64 s[12:13], 0
	s_cbranch_scc0 .LBB18_1221
; %bb.1214:
	s_cmp_gt_i32 s22, 28
	s_cbranch_scc0 .LBB18_1222
; %bb.1215:
	s_cmp_gt_i32 s22, 43
	;; [unrolled: 3-line block ×3, first 2 shown]
	s_cbranch_scc0 .LBB18_1225
; %bb.1217:
	s_cmp_eq_u32 s22, 46
	s_mov_b64 s[18:19], 0
	s_cbranch_scc0 .LBB18_1228
; %bb.1218:
	global_load_dword v4, v[1:2], off
	s_mov_b64 s[0:1], 0
	s_mov_b64 s[16:17], -1
	s_waitcnt vmcnt(0)
	v_lshlrev_b32_e32 v4, 16, v4
	s_branch .LBB18_1229
.LBB18_1219:
	s_mov_b64 s[16:17], 0
                                        ; implicit-def: $vgpr4
	s_cbranch_execnz .LBB18_1294
.LBB18_1220:
	s_andn2_b64 vcc, exec, s[16:17]
	s_cbranch_vccnz .LBB18_1714
	s_branch .LBB18_1341
.LBB18_1221:
	s_mov_b64 s[16:17], 0
	s_mov_b64 s[0:1], 0
                                        ; implicit-def: $vgpr4
	s_cbranch_execnz .LBB18_1258
	s_branch .LBB18_1290
.LBB18_1222:
	s_mov_b64 s[18:19], -1
	s_mov_b64 s[16:17], 0
	s_mov_b64 s[0:1], 0
                                        ; implicit-def: $vgpr4
	s_branch .LBB18_1239
.LBB18_1223:
	s_mov_b64 s[18:19], -1
	s_mov_b64 s[16:17], 0
	s_mov_b64 s[0:1], 0
                                        ; implicit-def: $vgpr4
	s_branch .LBB18_1234
.LBB18_1224:
	s_or_b64 s[14:15], s[6:7], exec
	s_trap 2
	s_cbranch_execz .LBB18_1153
	s_branch .LBB18_1154
.LBB18_1225:
	s_mov_b64 s[18:19], -1
	s_mov_b64 s[16:17], 0
	s_mov_b64 s[0:1], 0
                                        ; implicit-def: $vgpr4
	s_branch .LBB18_1229
.LBB18_1226:
	s_andn2_saveexec_b64 s[24:25], s[24:25]
	s_cbranch_execz .LBB18_1000
.LBB18_1227:
	s_mov_b32 s28, 0x42800000
	v_add_f32_e64 v1, |v0|, s28
	v_and_b32_e32 v1, 0xff, v1
	v_cmp_ne_u32_e32 vcc, 0, v1
	s_andn2_b64 s[22:23], s[22:23], exec
	s_and_b64 s[28:29], vcc, exec
	s_or_b64 s[22:23], s[22:23], s[28:29]
	s_or_b64 exec, exec, s[24:25]
	v_mov_b32_e32 v4, 0
	s_and_saveexec_b64 s[24:25], s[22:23]
	s_cbranch_execnz .LBB18_1001
	s_branch .LBB18_1002
.LBB18_1228:
	s_mov_b64 s[0:1], -1
                                        ; implicit-def: $vgpr4
	s_mov_b64 s[16:17], 0
.LBB18_1229:
	s_and_b64 vcc, exec, s[18:19]
	s_cbranch_vccz .LBB18_1233
; %bb.1230:
	s_cmp_eq_u32 s22, 44
	s_cbranch_scc0 .LBB18_1232
; %bb.1231:
	global_load_ubyte v4, v[1:2], off
	s_movk_i32 s16, 0xff
	v_mov_b32_e32 v5, 0x7f800001
	v_mov_b32_e32 v6, 0x400000
	s_mov_b64 s[0:1], 0
	s_waitcnt vmcnt(0)
	v_lshlrev_b32_e32 v8, 23, v4
	v_cmp_ne_u32_e32 vcc, s16, v4
	v_cndmask_b32_e32 v5, v5, v8, vcc
	v_cmp_ne_u32_e32 vcc, 0, v4
	v_cndmask_b32_e32 v4, v6, v5, vcc
	s_mov_b64 s[16:17], -1
	s_branch .LBB18_1233
.LBB18_1232:
	s_mov_b64 s[0:1], -1
                                        ; implicit-def: $vgpr4
.LBB18_1233:
	s_mov_b64 s[18:19], 0
.LBB18_1234:
	s_and_b64 vcc, exec, s[18:19]
	s_cbranch_vccz .LBB18_1238
; %bb.1235:
	s_cmp_eq_u32 s22, 29
	s_cbranch_scc0 .LBB18_1237
; %bb.1236:
	global_load_dwordx2 v[4:5], v[1:2], off
	s_mov_b64 s[0:1], 0
	s_mov_b64 s[16:17], -1
	s_mov_b64 s[18:19], 0
	s_waitcnt vmcnt(0)
	v_ffbh_u32_e32 v6, v5
	v_min_u32_e32 v6, 32, v6
	v_lshlrev_b64 v[4:5], v6, v[4:5]
	v_min_u32_e32 v4, 1, v4
	v_or_b32_e32 v4, v5, v4
	v_cvt_f32_u32_e32 v4, v4
	v_sub_u32_e32 v5, 32, v6
	v_ldexp_f32 v4, v4, v5
	s_branch .LBB18_1239
.LBB18_1237:
	s_mov_b64 s[0:1], -1
                                        ; implicit-def: $vgpr4
.LBB18_1238:
	s_mov_b64 s[18:19], 0
.LBB18_1239:
	s_and_b64 vcc, exec, s[18:19]
	s_cbranch_vccz .LBB18_1257
; %bb.1240:
	s_cmp_lt_i32 s22, 27
	s_cbranch_scc1 .LBB18_1243
; %bb.1241:
	s_cmp_gt_i32 s22, 27
	s_cbranch_scc0 .LBB18_1244
; %bb.1242:
	global_load_dword v4, v[1:2], off
	s_mov_b64 s[16:17], 0
	s_waitcnt vmcnt(0)
	v_cvt_f32_u32_e32 v4, v4
	s_branch .LBB18_1245
.LBB18_1243:
	s_mov_b64 s[16:17], -1
                                        ; implicit-def: $vgpr4
	s_branch .LBB18_1248
.LBB18_1244:
	s_mov_b64 s[16:17], -1
                                        ; implicit-def: $vgpr4
.LBB18_1245:
	s_andn2_b64 vcc, exec, s[16:17]
	s_cbranch_vccnz .LBB18_1247
; %bb.1246:
	global_load_ushort v4, v[1:2], off
	s_waitcnt vmcnt(0)
	v_cvt_f32_u32_e32 v4, v4
.LBB18_1247:
	s_mov_b64 s[16:17], 0
.LBB18_1248:
	s_andn2_b64 vcc, exec, s[16:17]
	s_cbranch_vccnz .LBB18_1256
; %bb.1249:
	global_load_ubyte v5, v[1:2], off
	s_movk_i32 s16, 0x7f
	s_waitcnt vmcnt(0)
	v_cmp_lt_i16_e32 vcc, s16, v5
	s_mov_b64 s[16:17], 0
	s_and_saveexec_b64 s[18:19], vcc
	s_xor_b64 s[18:19], exec, s[18:19]
	s_cbranch_execz .LBB18_1269
; %bb.1250:
	s_movk_i32 s16, 0x80
	v_cmp_eq_u16_e32 vcc, s16, v5
	s_mov_b64 s[16:17], -1
	s_and_saveexec_b64 s[20:21], vcc
; %bb.1251:
	s_xor_b64 s[16:17], exec, -1
; %bb.1252:
	s_or_b64 exec, exec, s[20:21]
	s_and_b64 s[16:17], s[16:17], exec
	s_or_saveexec_b64 s[18:19], s[18:19]
	v_mov_b32_e32 v4, 0x7f800001
	s_xor_b64 exec, exec, s[18:19]
	s_cbranch_execnz .LBB18_1270
.LBB18_1253:
	s_or_b64 exec, exec, s[18:19]
	s_and_saveexec_b64 s[18:19], s[16:17]
	s_cbranch_execz .LBB18_1255
.LBB18_1254:
	v_lshlrev_b32_e32 v4, 24, v5
	v_and_b32_e32 v5, 0xffff, v5
	v_and_b32_e32 v6, 7, v5
	v_ffbh_u32_e32 v9, v6
	v_min_u32_e32 v9, 32, v9
	v_subrev_u32_e32 v10, 28, v9
	v_bfe_u32 v8, v5, 3, 4
	v_lshlrev_b32_e32 v5, v10, v5
	v_sub_u32_e32 v9, 29, v9
	v_and_b32_e32 v5, 7, v5
	v_cmp_eq_u32_e32 vcc, 0, v8
	v_cndmask_b32_e32 v8, v8, v9, vcc
	v_cndmask_b32_e32 v5, v6, v5, vcc
	v_mov_b32_e32 v6, 0x3b800000
	v_lshlrev_b32_e32 v5, 20, v5
	v_and_b32_e32 v4, 0x80000000, v4
	v_lshl_add_u32 v6, v8, 23, v6
	v_or3_b32 v4, v4, v6, v5
.LBB18_1255:
	s_or_b64 exec, exec, s[18:19]
.LBB18_1256:
	s_mov_b64 s[16:17], -1
.LBB18_1257:
	s_branch .LBB18_1290
.LBB18_1258:
	s_cmp_gt_i32 s22, 22
	s_cbranch_scc0 .LBB18_1268
; %bb.1259:
	s_cmp_lt_i32 s22, 24
	s_cbranch_scc1 .LBB18_1271
; %bb.1260:
	s_cmp_gt_i32 s22, 24
	s_cbranch_scc0 .LBB18_1272
; %bb.1261:
	global_load_ubyte v5, v[1:2], off
	s_movk_i32 s12, 0x7f
	s_waitcnt vmcnt(0)
	v_cmp_lt_i16_e32 vcc, s12, v5
	s_mov_b64 s[12:13], 0
	s_and_saveexec_b64 s[16:17], vcc
	s_xor_b64 s[16:17], exec, s[16:17]
	s_cbranch_execz .LBB18_1284
; %bb.1262:
	s_movk_i32 s12, 0x80
	v_cmp_eq_u16_e32 vcc, s12, v5
	s_mov_b64 s[12:13], -1
	s_and_saveexec_b64 s[18:19], vcc
; %bb.1263:
	s_xor_b64 s[12:13], exec, -1
; %bb.1264:
	s_or_b64 exec, exec, s[18:19]
	s_and_b64 s[12:13], s[12:13], exec
	s_or_saveexec_b64 s[16:17], s[16:17]
	v_mov_b32_e32 v4, 0x7f800001
	s_xor_b64 exec, exec, s[16:17]
	s_cbranch_execnz .LBB18_1285
.LBB18_1265:
	s_or_b64 exec, exec, s[16:17]
	s_and_saveexec_b64 s[16:17], s[12:13]
	s_cbranch_execz .LBB18_1267
.LBB18_1266:
	v_lshlrev_b32_e32 v4, 24, v5
	v_and_b32_e32 v5, 0xffff, v5
	v_and_b32_e32 v6, 3, v5
	v_ffbh_u32_e32 v9, v6
	v_min_u32_e32 v9, 32, v9
	v_subrev_u32_e32 v10, 29, v9
	v_bfe_u32 v8, v5, 2, 5
	v_lshlrev_b32_e32 v5, v10, v5
	v_sub_u32_e32 v9, 30, v9
	v_and_b32_e32 v5, 3, v5
	v_cmp_eq_u32_e32 vcc, 0, v8
	v_cndmask_b32_e32 v8, v8, v9, vcc
	v_cndmask_b32_e32 v5, v6, v5, vcc
	v_mov_b32_e32 v6, 0x37800000
	v_lshlrev_b32_e32 v5, 21, v5
	v_and_b32_e32 v4, 0x80000000, v4
	v_lshl_add_u32 v6, v8, 23, v6
	v_or3_b32 v4, v4, v6, v5
.LBB18_1267:
	s_or_b64 exec, exec, s[16:17]
	s_mov_b64 s[12:13], 0
	s_branch .LBB18_1273
.LBB18_1268:
	s_mov_b64 s[12:13], -1
                                        ; implicit-def: $vgpr4
	s_branch .LBB18_1279
.LBB18_1269:
	s_or_saveexec_b64 s[18:19], s[18:19]
	v_mov_b32_e32 v4, 0x7f800001
	s_xor_b64 exec, exec, s[18:19]
	s_cbranch_execz .LBB18_1253
.LBB18_1270:
	v_cmp_ne_u16_e32 vcc, 0, v5
	s_andn2_b64 s[16:17], s[16:17], exec
	s_and_b64 s[20:21], vcc, exec
	v_mov_b32_e32 v4, 0
	s_or_b64 s[16:17], s[16:17], s[20:21]
	s_or_b64 exec, exec, s[18:19]
	s_and_saveexec_b64 s[18:19], s[16:17]
	s_cbranch_execnz .LBB18_1254
	s_branch .LBB18_1255
.LBB18_1271:
	s_mov_b64 s[12:13], -1
                                        ; implicit-def: $vgpr4
	s_branch .LBB18_1276
.LBB18_1272:
	s_mov_b64 s[12:13], -1
                                        ; implicit-def: $vgpr4
.LBB18_1273:
	s_and_b64 vcc, exec, s[12:13]
	s_cbranch_vccz .LBB18_1275
; %bb.1274:
	global_load_ubyte v4, v[1:2], off
	s_mov_b32 s12, 0x7f800000
	s_waitcnt vmcnt(0)
	v_lshlrev_b32_e32 v4, 24, v4
	v_and_b32_e32 v5, 0x7f000000, v4
	v_ffbh_u32_e32 v6, v5
	v_min_u32_e32 v6, 32, v6
	v_sub_u32_e64 v6, v6, 4 clamp
	v_lshlrev_b32_e32 v9, v6, v5
	v_lshlrev_b32_e32 v6, 23, v6
	v_lshrrev_b32_e32 v9, 4, v9
	v_add_u32_e32 v8, 0x1000000, v5
	v_sub_u32_e32 v6, v9, v6
	v_ashrrev_i32_e32 v8, 8, v8
	v_add_u32_e32 v6, 0x3c000000, v6
	v_and_or_b32 v6, v8, s12, v6
	v_cmp_ne_u32_e32 vcc, 0, v5
	v_cndmask_b32_e32 v5, 0, v6, vcc
	s_brev_b32 s12, 1
	v_and_or_b32 v4, v4, s12, v5
.LBB18_1275:
	s_mov_b64 s[12:13], 0
.LBB18_1276:
	s_andn2_b64 vcc, exec, s[12:13]
	s_cbranch_vccnz .LBB18_1278
; %bb.1277:
	global_load_ubyte v4, v[1:2], off
	s_movk_i32 s12, 0x7f00
	s_brev_b32 s13, 16
	s_waitcnt vmcnt(0)
	v_lshlrev_b16_e32 v5, 8, v4
	v_lshlrev_b32_e32 v4, 25, v4
	v_lshrrev_b32_e32 v6, 4, v4
	v_and_or_b32 v8, v5, s12, 0.5
	v_or_b32_e32 v6, 0x70000000, v6
	v_add_f32_e32 v8, -0.5, v8
	v_mul_f32_e32 v6, 0x7800000, v6
	v_cmp_gt_u32_e32 vcc, s13, v4
	v_bfe_i32 v5, v5, 0, 16
	v_cndmask_b32_e32 v4, v6, v8, vcc
	s_brev_b32 s12, 1
	v_and_or_b32 v4, v5, s12, v4
.LBB18_1278:
	s_mov_b64 s[12:13], 0
	s_mov_b64 s[16:17], -1
.LBB18_1279:
	s_andn2_b64 vcc, exec, s[12:13]
	s_mov_b64 s[12:13], 0
	s_cbranch_vccnz .LBB18_1290
; %bb.1280:
	s_cmp_gt_i32 s22, 14
	s_cbranch_scc0 .LBB18_1283
; %bb.1281:
	s_cmp_eq_u32 s22, 15
	s_cbranch_scc0 .LBB18_1286
; %bb.1282:
	global_load_ushort v4, v[1:2], off
	s_mov_b64 s[0:1], 0
	s_mov_b64 s[16:17], -1
	s_waitcnt vmcnt(0)
	v_lshlrev_b32_e32 v4, 16, v4
	s_branch .LBB18_1287
.LBB18_1283:
	s_mov_b64 s[18:19], -1
                                        ; implicit-def: $vgpr4
	s_branch .LBB18_1288
.LBB18_1284:
	s_or_saveexec_b64 s[16:17], s[16:17]
	v_mov_b32_e32 v4, 0x7f800001
	s_xor_b64 exec, exec, s[16:17]
	s_cbranch_execz .LBB18_1265
.LBB18_1285:
	v_cmp_ne_u16_e32 vcc, 0, v5
	s_andn2_b64 s[12:13], s[12:13], exec
	s_and_b64 s[18:19], vcc, exec
	v_mov_b32_e32 v4, 0
	s_or_b64 s[12:13], s[12:13], s[18:19]
	s_or_b64 exec, exec, s[16:17]
	s_and_saveexec_b64 s[16:17], s[12:13]
	s_cbranch_execnz .LBB18_1266
	s_branch .LBB18_1267
.LBB18_1286:
	s_mov_b64 s[0:1], -1
                                        ; implicit-def: $vgpr4
.LBB18_1287:
	s_mov_b64 s[18:19], 0
.LBB18_1288:
	s_and_b64 vcc, exec, s[18:19]
	s_cbranch_vccz .LBB18_1290
; %bb.1289:
	s_cmp_lg_u32 s22, 11
	s_mov_b64 s[12:13], -1
	s_cselect_b64 s[0:1], -1, 0
.LBB18_1290:
	s_and_b64 vcc, exec, s[0:1]
	s_cbranch_vccnz .LBB18_1365
; %bb.1291:
	s_andn2_b64 vcc, exec, s[12:13]
	s_cbranch_vccnz .LBB18_1293
.LBB18_1292:
	global_load_ubyte v4, v[1:2], off
	s_mov_b64 s[16:17], -1
	s_waitcnt vmcnt(0)
	v_cmp_ne_u16_e32 vcc, 0, v4
	v_cndmask_b32_e64 v4, 0, 1.0, vcc
.LBB18_1293:
	s_branch .LBB18_1220
.LBB18_1294:
	s_cmp_lt_i32 s22, 5
	s_cbranch_scc1 .LBB18_1299
; %bb.1295:
	s_cmp_lt_i32 s22, 8
	s_cbranch_scc1 .LBB18_1300
; %bb.1296:
	;; [unrolled: 3-line block ×3, first 2 shown]
	s_cmp_gt_i32 s22, 9
	s_cbranch_scc0 .LBB18_1302
; %bb.1298:
	global_load_dwordx2 v[4:5], v[1:2], off
	s_mov_b64 s[0:1], 0
	s_waitcnt vmcnt(0)
	v_cvt_f32_f64_e32 v4, v[4:5]
	s_branch .LBB18_1303
.LBB18_1299:
                                        ; implicit-def: $vgpr4
	s_branch .LBB18_1321
.LBB18_1300:
	s_mov_b64 s[0:1], -1
                                        ; implicit-def: $vgpr4
	s_branch .LBB18_1309
.LBB18_1301:
	s_mov_b64 s[0:1], -1
                                        ; implicit-def: $vgpr4
	s_branch .LBB18_1306
.LBB18_1302:
	s_mov_b64 s[0:1], -1
                                        ; implicit-def: $vgpr4
.LBB18_1303:
	s_andn2_b64 vcc, exec, s[0:1]
	s_cbranch_vccnz .LBB18_1305
; %bb.1304:
	global_load_dword v4, v[1:2], off
.LBB18_1305:
	s_mov_b64 s[0:1], 0
.LBB18_1306:
	s_andn2_b64 vcc, exec, s[0:1]
	s_cbranch_vccnz .LBB18_1308
; %bb.1307:
	global_load_dword v4, v[1:2], off
	s_waitcnt vmcnt(0)
	v_cvt_f32_f16_e32 v4, v4
.LBB18_1308:
	s_mov_b64 s[0:1], 0
.LBB18_1309:
	s_andn2_b64 vcc, exec, s[0:1]
	s_cbranch_vccnz .LBB18_1320
; %bb.1310:
	s_cmp_lt_i32 s22, 6
	s_cbranch_scc1 .LBB18_1313
; %bb.1311:
	s_cmp_gt_i32 s22, 6
	s_cbranch_scc0 .LBB18_1314
; %bb.1312:
	global_load_dwordx2 v[4:5], v[1:2], off
	s_mov_b64 s[0:1], 0
	s_waitcnt vmcnt(0)
	v_cvt_f32_f64_e32 v4, v[4:5]
	s_branch .LBB18_1315
.LBB18_1313:
	s_mov_b64 s[0:1], -1
                                        ; implicit-def: $vgpr4
	s_branch .LBB18_1318
.LBB18_1314:
	s_mov_b64 s[0:1], -1
                                        ; implicit-def: $vgpr4
.LBB18_1315:
	s_andn2_b64 vcc, exec, s[0:1]
	s_cbranch_vccnz .LBB18_1317
; %bb.1316:
	global_load_dword v4, v[1:2], off
.LBB18_1317:
	s_mov_b64 s[0:1], 0
.LBB18_1318:
	s_andn2_b64 vcc, exec, s[0:1]
	s_cbranch_vccnz .LBB18_1320
; %bb.1319:
	global_load_ushort v4, v[1:2], off
	s_waitcnt vmcnt(0)
	v_cvt_f32_f16_e32 v4, v4
.LBB18_1320:
	s_cbranch_execnz .LBB18_1340
.LBB18_1321:
	s_cmp_lt_i32 s22, 2
	s_cbranch_scc1 .LBB18_1325
; %bb.1322:
	s_cmp_lt_i32 s22, 3
	s_cbranch_scc1 .LBB18_1326
; %bb.1323:
	s_cmp_gt_i32 s22, 3
	s_cbranch_scc0 .LBB18_1327
; %bb.1324:
	global_load_dwordx2 v[4:5], v[1:2], off
	s_mov_b64 s[0:1], 0
	s_waitcnt vmcnt(0)
	v_xor_b32_e32 v8, v4, v5
	v_ffbh_i32_e32 v6, v5
	v_ashrrev_i32_e32 v8, 31, v8
	v_add_u32_e32 v6, -1, v6
	v_add_u32_e32 v8, 32, v8
	v_min_u32_e32 v6, v6, v8
	v_lshlrev_b64 v[4:5], v6, v[4:5]
	v_min_u32_e32 v4, 1, v4
	v_or_b32_e32 v4, v5, v4
	v_cvt_f32_i32_e32 v4, v4
	v_sub_u32_e32 v5, 32, v6
	v_ldexp_f32 v4, v4, v5
	s_branch .LBB18_1328
.LBB18_1325:
	s_mov_b64 s[0:1], -1
                                        ; implicit-def: $vgpr4
	s_branch .LBB18_1334
.LBB18_1326:
	s_mov_b64 s[0:1], -1
                                        ; implicit-def: $vgpr4
	s_branch .LBB18_1331
.LBB18_1327:
	s_mov_b64 s[0:1], -1
                                        ; implicit-def: $vgpr4
.LBB18_1328:
	s_andn2_b64 vcc, exec, s[0:1]
	s_cbranch_vccnz .LBB18_1330
; %bb.1329:
	global_load_dword v4, v[1:2], off
	s_waitcnt vmcnt(0)
	v_cvt_f32_i32_e32 v4, v4
.LBB18_1330:
	s_mov_b64 s[0:1], 0
.LBB18_1331:
	s_andn2_b64 vcc, exec, s[0:1]
	s_cbranch_vccnz .LBB18_1333
; %bb.1332:
	global_load_sshort v4, v[1:2], off
	s_waitcnt vmcnt(0)
	v_cvt_f32_i32_e32 v4, v4
.LBB18_1333:
	s_mov_b64 s[0:1], 0
.LBB18_1334:
	s_andn2_b64 vcc, exec, s[0:1]
	s_cbranch_vccnz .LBB18_1340
; %bb.1335:
	s_cmp_gt_i32 s22, 0
	s_cbranch_scc0 .LBB18_1337
; %bb.1336:
	global_load_sbyte v4, v[1:2], off
	s_mov_b64 s[0:1], 0
	s_waitcnt vmcnt(0)
	v_cvt_f32_i32_e32 v4, v4
	s_branch .LBB18_1338
.LBB18_1337:
	s_mov_b64 s[0:1], -1
                                        ; implicit-def: $vgpr4
.LBB18_1338:
	s_andn2_b64 vcc, exec, s[0:1]
	s_cbranch_vccnz .LBB18_1340
; %bb.1339:
	global_load_ubyte v1, v[1:2], off
	s_waitcnt vmcnt(0)
	v_cvt_f32_ubyte0_e32 v4, v1
.LBB18_1340:
.LBB18_1341:
	s_mov_b32 s0, 0x41000000
	s_waitcnt vmcnt(0)
	v_cmp_le_f32_e64 s[0:1], |v4|, s0
                                        ; implicit-def: $vgpr2
	s_and_saveexec_b64 s[12:13], s[0:1]
	s_xor_b64 s[12:13], exec, s[12:13]
	s_cbranch_execz .LBB18_1347
; %bb.1342:
	v_fma_f32 v1, |v4|, 0.5, -2.0
	v_mov_b32_e32 v2, 0xa3c2be86
	v_fmac_f32_e32 v2, 0x224cf950, v1
	v_mov_b32_e32 v5, 0xa24cf950
	v_fmac_f32_e32 v5, v1, v2
	v_add_f32_e32 v5, 0x25331f1f, v5
	v_fma_f32 v2, v1, v5, -v2
	v_add_f32_e32 v2, 0xa69f5554, v2
	v_fma_f32 v5, v1, v2, -v5
	;; [unrolled: 2-line block ×25, first 2 shown]
	v_add_f32_e32 v2, 0xbe34a688, v2
	s_mov_b32 s0, 0x3fb8aa3b
	v_fma_f32 v1, v1, v2, -v5
	v_mul_f32_e64 v2, |v4|, s0
	v_rndne_f32_e32 v6, v2
	v_sub_f32_e32 v8, v2, v6
	v_fma_f32 v2, |v4|, s0, -v2
	s_mov_b32 s0, 0x32a5705f
	v_fma_f32 v2, |v4|, s0, v2
	v_add_f32_e32 v2, v8, v2
	v_exp_f32_e32 v2, v2
	v_cvt_i32_f32_e32 v6, v6
	s_mov_b32 s0, 0xc2ce8ed0
	v_add_f32_e32 v1, 0x3e81531c, v1
	v_cmp_nlt_f32_e64 s[0:1], |v4|, s0
	v_ldexp_f32 v2, v2, v6
	v_sub_f32_e32 v1, v1, v5
	v_cndmask_b32_e64 v2, 0, v2, s[0:1]
	s_mov_b32 s0, 0x42b17218
	v_mul_f32_e32 v1, 0.5, v1
	v_mov_b32_e32 v5, 0x7f800000
	v_cmp_ngt_f32_e64 s[0:1], |v4|, s0
	v_cmp_ngt_f32_e32 vcc, 0, v4
	v_mul_f32_e64 v1, |v4|, v1
	v_cndmask_b32_e64 v4, v5, v2, s[0:1]
                                        ; implicit-def: $vgpr2
	s_and_saveexec_b64 s[0:1], vcc
	s_xor_b64 s[0:1], exec, s[0:1]
; %bb.1343:
	v_mul_f32_e32 v2, v4, v1
                                        ; implicit-def: $vgpr4
                                        ; implicit-def: $vgpr1
; %bb.1344:
	s_andn2_saveexec_b64 s[0:1], s[0:1]
; %bb.1345:
	v_mul_f32_e64 v2, v1, -v4
; %bb.1346:
	s_or_b64 exec, exec, s[0:1]
                                        ; implicit-def: $vgpr4
.LBB18_1347:
	s_andn2_saveexec_b64 s[12:13], s[12:13]
	s_cbranch_execz .LBB18_1353
; %bb.1348:
	v_and_b32_e32 v1, 0x7fffffff, v4
	s_mov_b32 s16, 0x42000000
	v_div_scale_f32 v2, s[0:1], v1, v1, s16
	v_div_scale_f32 v1, vcc, s16, v1, s16
	s_mov_b32 s17, 0x3fb8aa3b
	s_mov_b32 s18, 0x32a5705f
	v_mov_b32_e32 v5, 0x22a2dc57
	v_mov_b32_e32 v8, 0xa30aab6e
	v_cmp_ngt_f32_e64 s[0:1], 0, v4
	v_rcp_f32_e32 v6, v2
	v_fma_f32 v9, -v2, v6, 1.0
	v_fmac_f32_e32 v6, v9, v6
	v_mul_f32_e32 v9, v1, v6
	v_fma_f32 v10, -v2, v9, v1
	v_fmac_f32_e32 v9, v10, v6
	v_fma_f32 v1, -v2, v9, v1
	v_div_fmas_f32 v1, v1, v6, v9
	v_mul_f32_e64 v2, |v4|, s17
	v_rndne_f32_e32 v6, v2
	v_fma_f32 v9, |v4|, s17, -v2
	v_sub_f32_e32 v2, v2, v6
	v_fma_f32 v9, |v4|, s18, v9
	v_add_f32_e32 v2, v2, v9
	v_cvt_i32_f32_e32 v6, v6
	v_exp_f32_e32 v2, v2
	s_mov_b32 s17, 0xc2ce8ed0
	s_mov_b32 s18, 0x42b17218
	v_cmp_nlt_f32_e64 vcc, |v4|, s17
	v_ldexp_f32 v2, v2, v6
	v_mov_b32_e32 v9, 0x7f800000
	v_cndmask_b32_e32 v2, 0, v2, vcc
	v_cmp_ngt_f32_e64 vcc, |v4|, s18
	v_div_fixup_f32 v1, v1, |v4|, s16
	v_add_f32_e32 v1, -2.0, v1
	v_fmac_f32_e32 v5, 0x230aab6e, v1
	v_fmac_f32_e32 v8, v1, v5
	v_add_f32_e32 v6, 0xa456751e, v8
	v_fma_f32 v5, v1, v6, -v5
	v_add_f32_e32 v5, 0xa4140365, v5
	v_fma_f32 v6, v1, v5, -v6
	;; [unrolled: 2-line block ×22, first 2 shown]
	v_add_f32_e32 v5, 0x3f4750c6, v1
	v_cndmask_b32_e32 v1, v9, v2, vcc
	v_sub_f32_e32 v5, v5, v6
                                        ; implicit-def: $vgpr2
	s_and_saveexec_b64 s[16:17], s[0:1]
	s_xor_b64 s[16:17], exec, s[16:17]
	s_cbranch_execz .LBB18_1350
; %bb.1349:
	s_mov_b32 s0, 0xf800000
	s_mov_b32 s1, 0x4f800000
	v_mul_f32_e64 v2, |v4|, s1
	v_cmp_lt_f32_e64 vcc, |v4|, s0
	v_cndmask_b32_e64 v2, |v4|, v2, vcc
	v_sqrt_f32_e32 v4, v2
	v_mul_f32_e32 v5, 0.5, v5
	v_mul_f32_e32 v1, v1, v5
	v_add_u32_e32 v5, -1, v4
	v_fma_f32 v6, -v5, v4, v2
	v_cmp_ge_f32_e64 s[0:1], 0, v6
	v_add_u32_e32 v6, 1, v4
	v_cndmask_b32_e64 v5, v4, v5, s[0:1]
	v_fma_f32 v4, -v6, v4, v2
	v_cmp_lt_f32_e64 s[0:1], 0, v4
	v_cndmask_b32_e64 v4, v5, v6, s[0:1]
	v_mul_f32_e32 v5, 0x37800000, v4
	v_cndmask_b32_e32 v4, v4, v5, vcc
	v_mov_b32_e32 v5, 0x260
	v_cmp_class_f32_e32 vcc, v2, v5
	v_cndmask_b32_e32 v2, v4, v2, vcc
	v_div_scale_f32 v4, s[0:1], v2, v2, v1
	v_div_scale_f32 v5, vcc, v1, v2, v1
	v_rcp_f32_e32 v6, v4
	v_fma_f32 v8, -v4, v6, 1.0
	v_fmac_f32_e32 v6, v8, v6
	v_mul_f32_e32 v8, v5, v6
	v_fma_f32 v9, -v4, v8, v5
	v_fmac_f32_e32 v8, v9, v6
	v_fma_f32 v4, -v4, v8, v5
	v_div_fmas_f32 v4, v4, v6, v8
                                        ; implicit-def: $vgpr5
	v_div_fixup_f32 v2, v4, v2, v1
                                        ; implicit-def: $vgpr4
                                        ; implicit-def: $vgpr1
.LBB18_1350:
	s_andn2_saveexec_b64 s[16:17], s[16:17]
	s_cbranch_execz .LBB18_1352
; %bb.1351:
	s_mov_b32 s0, 0xf800000
	s_mov_b32 s1, 0x4f800000
	v_mul_f32_e64 v2, |v4|, s1
	v_cmp_lt_f32_e64 vcc, |v4|, s0
	v_cndmask_b32_e64 v2, |v4|, v2, vcc
	v_sqrt_f32_e32 v4, v2
	v_add_u32_e32 v6, -1, v4
	v_fma_f32 v8, -v6, v4, v2
	v_cmp_ge_f32_e64 s[0:1], 0, v8
	v_add_u32_e32 v8, 1, v4
	v_cndmask_b32_e64 v6, v4, v6, s[0:1]
	v_fma_f32 v4, -v8, v4, v2
	v_cmp_lt_f32_e64 s[0:1], 0, v4
	v_cndmask_b32_e64 v4, v6, v8, s[0:1]
	v_mul_f32_e32 v6, 0x37800000, v4
	v_cndmask_b32_e32 v4, v4, v6, vcc
	v_mov_b32_e32 v6, 0x260
	v_cmp_class_f32_e32 vcc, v2, v6
	v_cndmask_b32_e32 v2, v4, v2, vcc
	v_mul_f32_e32 v4, -0.5, v5
	v_mul_f32_e32 v1, v1, v4
	v_div_scale_f32 v4, s[0:1], v2, v2, v1
	v_div_scale_f32 v5, vcc, v1, v2, v1
	v_rcp_f32_e32 v6, v4
	v_fma_f32 v8, -v4, v6, 1.0
	v_fmac_f32_e32 v6, v8, v6
	v_mul_f32_e32 v8, v5, v6
	v_fma_f32 v9, -v4, v8, v5
	v_fmac_f32_e32 v8, v9, v6
	v_fma_f32 v4, -v4, v8, v5
	v_div_fmas_f32 v4, v4, v6, v8
	v_div_fixup_f32 v2, v4, v2, v1
.LBB18_1352:
	s_or_b64 exec, exec, s[16:17]
.LBB18_1353:
	s_or_b64 exec, exec, s[12:13]
	v_add_u32_e32 v1, s3, v3
	v_ashrrev_i32_e32 v4, 31, v1
	v_mov_b32_e32 v5, s11
	v_add_co_u32_e32 v3, vcc, s10, v1
	s_cmp_lt_i32 s22, 11
	v_addc_co_u32_e32 v4, vcc, v5, v4, vcc
	s_cbranch_scc1 .LBB18_1360
; %bb.1354:
	s_cmp_gt_i32 s22, 25
	s_mov_b64 s[12:13], 0
	s_cbranch_scc0 .LBB18_1362
; %bb.1355:
	s_cmp_gt_i32 s22, 28
	s_cbranch_scc0 .LBB18_1363
; %bb.1356:
	s_cmp_gt_i32 s22, 43
	;; [unrolled: 3-line block ×3, first 2 shown]
	s_cbranch_scc0 .LBB18_1366
; %bb.1358:
	s_cmp_eq_u32 s22, 46
	s_mov_b64 s[18:19], 0
	s_cbranch_scc0 .LBB18_1367
; %bb.1359:
	global_load_dword v5, v[3:4], off
	s_mov_b64 s[0:1], 0
	s_mov_b64 s[16:17], -1
	s_waitcnt vmcnt(0)
	v_lshlrev_b32_e32 v5, 16, v5
	s_branch .LBB18_1368
.LBB18_1360:
	s_mov_b64 s[16:17], 0
                                        ; implicit-def: $vgpr5
	s_cbranch_execnz .LBB18_1434
.LBB18_1361:
	s_andn2_b64 vcc, exec, s[16:17]
	s_cbranch_vccnz .LBB18_1714
	s_branch .LBB18_1482
.LBB18_1362:
	s_mov_b64 s[18:19], -1
	s_mov_b64 s[16:17], 0
	s_mov_b64 s[0:1], 0
                                        ; implicit-def: $vgpr5
	s_branch .LBB18_1397
.LBB18_1363:
	s_mov_b64 s[18:19], -1
	s_mov_b64 s[16:17], 0
	s_mov_b64 s[0:1], 0
                                        ; implicit-def: $vgpr5
	s_branch .LBB18_1378
.LBB18_1364:
	s_mov_b64 s[18:19], -1
	s_mov_b64 s[16:17], 0
	s_mov_b64 s[0:1], 0
                                        ; implicit-def: $vgpr5
	s_branch .LBB18_1373
.LBB18_1365:
	s_trap 2
	s_or_b64 s[14:15], s[14:15], exec
	s_cbranch_execz .LBB18_1292
	s_branch .LBB18_1293
.LBB18_1366:
	s_mov_b64 s[18:19], -1
	s_mov_b64 s[16:17], 0
	s_mov_b64 s[0:1], 0
                                        ; implicit-def: $vgpr5
	s_branch .LBB18_1368
.LBB18_1367:
	s_mov_b64 s[0:1], -1
                                        ; implicit-def: $vgpr5
	s_mov_b64 s[16:17], 0
.LBB18_1368:
	s_and_b64 vcc, exec, s[18:19]
	s_cbranch_vccz .LBB18_1372
; %bb.1369:
	s_cmp_eq_u32 s22, 44
	s_cbranch_scc0 .LBB18_1371
; %bb.1370:
	global_load_ubyte v5, v[3:4], off
	s_movk_i32 s16, 0xff
	v_mov_b32_e32 v6, 0x7f800001
	v_mov_b32_e32 v8, 0x400000
	s_mov_b64 s[0:1], 0
	s_waitcnt vmcnt(0)
	v_lshlrev_b32_e32 v9, 23, v5
	v_cmp_ne_u32_e32 vcc, s16, v5
	v_cndmask_b32_e32 v6, v6, v9, vcc
	v_cmp_ne_u32_e32 vcc, 0, v5
	v_cndmask_b32_e32 v5, v8, v6, vcc
	s_mov_b64 s[16:17], -1
	s_branch .LBB18_1372
.LBB18_1371:
	s_mov_b64 s[0:1], -1
                                        ; implicit-def: $vgpr5
.LBB18_1372:
	s_mov_b64 s[18:19], 0
.LBB18_1373:
	s_and_b64 vcc, exec, s[18:19]
	s_cbranch_vccz .LBB18_1377
; %bb.1374:
	s_cmp_eq_u32 s22, 29
	s_cbranch_scc0 .LBB18_1376
; %bb.1375:
	global_load_dwordx2 v[5:6], v[3:4], off
	s_mov_b64 s[0:1], 0
	s_mov_b64 s[16:17], -1
	s_mov_b64 s[18:19], 0
	s_waitcnt vmcnt(0)
	v_ffbh_u32_e32 v8, v6
	v_min_u32_e32 v8, 32, v8
	v_lshlrev_b64 v[5:6], v8, v[5:6]
	v_min_u32_e32 v5, 1, v5
	v_or_b32_e32 v5, v6, v5
	v_cvt_f32_u32_e32 v5, v5
	v_sub_u32_e32 v6, 32, v8
	v_ldexp_f32 v5, v5, v6
	s_branch .LBB18_1378
.LBB18_1376:
	s_mov_b64 s[0:1], -1
                                        ; implicit-def: $vgpr5
.LBB18_1377:
	s_mov_b64 s[18:19], 0
.LBB18_1378:
	s_and_b64 vcc, exec, s[18:19]
	s_cbranch_vccz .LBB18_1396
; %bb.1379:
	s_cmp_lt_i32 s22, 27
	s_cbranch_scc1 .LBB18_1382
; %bb.1380:
	s_cmp_gt_i32 s22, 27
	s_cbranch_scc0 .LBB18_1383
; %bb.1381:
	global_load_dword v5, v[3:4], off
	s_mov_b64 s[16:17], 0
	s_waitcnt vmcnt(0)
	v_cvt_f32_u32_e32 v5, v5
	s_branch .LBB18_1384
.LBB18_1382:
	s_mov_b64 s[16:17], -1
                                        ; implicit-def: $vgpr5
	s_branch .LBB18_1387
.LBB18_1383:
	s_mov_b64 s[16:17], -1
                                        ; implicit-def: $vgpr5
.LBB18_1384:
	s_andn2_b64 vcc, exec, s[16:17]
	s_cbranch_vccnz .LBB18_1386
; %bb.1385:
	global_load_ushort v5, v[3:4], off
	s_waitcnt vmcnt(0)
	v_cvt_f32_u32_e32 v5, v5
.LBB18_1386:
	s_mov_b64 s[16:17], 0
.LBB18_1387:
	s_andn2_b64 vcc, exec, s[16:17]
	s_cbranch_vccnz .LBB18_1395
; %bb.1388:
	global_load_ubyte v6, v[3:4], off
	s_movk_i32 s16, 0x7f
	s_waitcnt vmcnt(0)
	v_cmp_lt_i16_e32 vcc, s16, v6
	s_mov_b64 s[16:17], 0
	s_and_saveexec_b64 s[18:19], vcc
	s_xor_b64 s[18:19], exec, s[18:19]
	s_cbranch_execz .LBB18_1409
; %bb.1389:
	s_movk_i32 s16, 0x80
	v_cmp_eq_u16_e32 vcc, s16, v6
	s_mov_b64 s[16:17], -1
	s_and_saveexec_b64 s[20:21], vcc
; %bb.1390:
	s_xor_b64 s[16:17], exec, -1
; %bb.1391:
	s_or_b64 exec, exec, s[20:21]
	s_and_b64 s[16:17], s[16:17], exec
	s_or_saveexec_b64 s[18:19], s[18:19]
	v_mov_b32_e32 v5, 0x7f800001
	s_xor_b64 exec, exec, s[18:19]
	s_cbranch_execnz .LBB18_1410
.LBB18_1392:
	s_or_b64 exec, exec, s[18:19]
	s_and_saveexec_b64 s[18:19], s[16:17]
	s_cbranch_execz .LBB18_1394
.LBB18_1393:
	v_lshlrev_b32_e32 v5, 24, v6
	v_and_b32_e32 v6, 0xffff, v6
	v_and_b32_e32 v8, 7, v6
	v_ffbh_u32_e32 v10, v8
	v_min_u32_e32 v10, 32, v10
	v_subrev_u32_e32 v11, 28, v10
	v_bfe_u32 v9, v6, 3, 4
	v_lshlrev_b32_e32 v6, v11, v6
	v_sub_u32_e32 v10, 29, v10
	v_and_b32_e32 v6, 7, v6
	v_cmp_eq_u32_e32 vcc, 0, v9
	v_cndmask_b32_e32 v9, v9, v10, vcc
	v_cndmask_b32_e32 v6, v8, v6, vcc
	v_mov_b32_e32 v8, 0x3b800000
	v_lshlrev_b32_e32 v6, 20, v6
	v_and_b32_e32 v5, 0x80000000, v5
	v_lshl_add_u32 v8, v9, 23, v8
	v_or3_b32 v5, v5, v8, v6
.LBB18_1394:
	s_or_b64 exec, exec, s[18:19]
.LBB18_1395:
	s_mov_b64 s[16:17], -1
.LBB18_1396:
	s_mov_b64 s[18:19], 0
.LBB18_1397:
	s_and_b64 vcc, exec, s[18:19]
	s_cbranch_vccz .LBB18_1430
; %bb.1398:
	s_cmp_gt_i32 s22, 22
	s_cbranch_scc0 .LBB18_1408
; %bb.1399:
	s_cmp_lt_i32 s22, 24
	s_cbranch_scc1 .LBB18_1411
; %bb.1400:
	s_cmp_gt_i32 s22, 24
	s_cbranch_scc0 .LBB18_1412
; %bb.1401:
	global_load_ubyte v6, v[3:4], off
	s_movk_i32 s12, 0x7f
	s_waitcnt vmcnt(0)
	v_cmp_lt_i16_e32 vcc, s12, v6
	s_mov_b64 s[12:13], 0
	s_and_saveexec_b64 s[16:17], vcc
	s_xor_b64 s[16:17], exec, s[16:17]
	s_cbranch_execz .LBB18_1424
; %bb.1402:
	s_movk_i32 s12, 0x80
	v_cmp_eq_u16_e32 vcc, s12, v6
	s_mov_b64 s[12:13], -1
	s_and_saveexec_b64 s[18:19], vcc
; %bb.1403:
	s_xor_b64 s[12:13], exec, -1
; %bb.1404:
	s_or_b64 exec, exec, s[18:19]
	s_and_b64 s[12:13], s[12:13], exec
	s_or_saveexec_b64 s[16:17], s[16:17]
	v_mov_b32_e32 v5, 0x7f800001
	s_xor_b64 exec, exec, s[16:17]
	s_cbranch_execnz .LBB18_1425
.LBB18_1405:
	s_or_b64 exec, exec, s[16:17]
	s_and_saveexec_b64 s[16:17], s[12:13]
	s_cbranch_execz .LBB18_1407
.LBB18_1406:
	v_lshlrev_b32_e32 v5, 24, v6
	v_and_b32_e32 v6, 0xffff, v6
	v_and_b32_e32 v8, 3, v6
	v_ffbh_u32_e32 v10, v8
	v_min_u32_e32 v10, 32, v10
	v_subrev_u32_e32 v11, 29, v10
	v_bfe_u32 v9, v6, 2, 5
	v_lshlrev_b32_e32 v6, v11, v6
	v_sub_u32_e32 v10, 30, v10
	v_and_b32_e32 v6, 3, v6
	v_cmp_eq_u32_e32 vcc, 0, v9
	v_cndmask_b32_e32 v9, v9, v10, vcc
	v_cndmask_b32_e32 v6, v8, v6, vcc
	v_mov_b32_e32 v8, 0x37800000
	v_lshlrev_b32_e32 v6, 21, v6
	v_and_b32_e32 v5, 0x80000000, v5
	v_lshl_add_u32 v8, v9, 23, v8
	v_or3_b32 v5, v5, v8, v6
.LBB18_1407:
	s_or_b64 exec, exec, s[16:17]
	s_mov_b64 s[12:13], 0
	s_branch .LBB18_1413
.LBB18_1408:
	s_mov_b64 s[12:13], -1
                                        ; implicit-def: $vgpr5
	s_branch .LBB18_1419
.LBB18_1409:
	s_or_saveexec_b64 s[18:19], s[18:19]
	v_mov_b32_e32 v5, 0x7f800001
	s_xor_b64 exec, exec, s[18:19]
	s_cbranch_execz .LBB18_1392
.LBB18_1410:
	v_cmp_ne_u16_e32 vcc, 0, v6
	s_andn2_b64 s[16:17], s[16:17], exec
	s_and_b64 s[20:21], vcc, exec
	v_mov_b32_e32 v5, 0
	s_or_b64 s[16:17], s[16:17], s[20:21]
	s_or_b64 exec, exec, s[18:19]
	s_and_saveexec_b64 s[18:19], s[16:17]
	s_cbranch_execnz .LBB18_1393
	s_branch .LBB18_1394
.LBB18_1411:
	s_mov_b64 s[12:13], -1
                                        ; implicit-def: $vgpr5
	s_branch .LBB18_1416
.LBB18_1412:
	s_mov_b64 s[12:13], -1
                                        ; implicit-def: $vgpr5
.LBB18_1413:
	s_and_b64 vcc, exec, s[12:13]
	s_cbranch_vccz .LBB18_1415
; %bb.1414:
	global_load_ubyte v5, v[3:4], off
	s_mov_b32 s12, 0x7f800000
	s_waitcnt vmcnt(0)
	v_lshlrev_b32_e32 v5, 24, v5
	v_and_b32_e32 v6, 0x7f000000, v5
	v_ffbh_u32_e32 v8, v6
	v_min_u32_e32 v8, 32, v8
	v_sub_u32_e64 v8, v8, 4 clamp
	v_lshlrev_b32_e32 v10, v8, v6
	v_lshlrev_b32_e32 v8, 23, v8
	v_lshrrev_b32_e32 v10, 4, v10
	v_add_u32_e32 v9, 0x1000000, v6
	v_sub_u32_e32 v8, v10, v8
	v_ashrrev_i32_e32 v9, 8, v9
	v_add_u32_e32 v8, 0x3c000000, v8
	v_and_or_b32 v8, v9, s12, v8
	v_cmp_ne_u32_e32 vcc, 0, v6
	v_cndmask_b32_e32 v6, 0, v8, vcc
	s_brev_b32 s12, 1
	v_and_or_b32 v5, v5, s12, v6
.LBB18_1415:
	s_mov_b64 s[12:13], 0
.LBB18_1416:
	s_andn2_b64 vcc, exec, s[12:13]
	s_cbranch_vccnz .LBB18_1418
; %bb.1417:
	global_load_ubyte v5, v[3:4], off
	s_movk_i32 s12, 0x7f00
	s_brev_b32 s13, 16
	s_waitcnt vmcnt(0)
	v_lshlrev_b16_e32 v6, 8, v5
	v_lshlrev_b32_e32 v5, 25, v5
	v_lshrrev_b32_e32 v8, 4, v5
	v_and_or_b32 v9, v6, s12, 0.5
	v_or_b32_e32 v8, 0x70000000, v8
	v_add_f32_e32 v9, -0.5, v9
	v_mul_f32_e32 v8, 0x7800000, v8
	v_cmp_gt_u32_e32 vcc, s13, v5
	v_bfe_i32 v6, v6, 0, 16
	v_cndmask_b32_e32 v5, v8, v9, vcc
	s_brev_b32 s12, 1
	v_and_or_b32 v5, v6, s12, v5
.LBB18_1418:
	s_mov_b64 s[12:13], 0
	s_mov_b64 s[16:17], -1
.LBB18_1419:
	s_andn2_b64 vcc, exec, s[12:13]
	s_mov_b64 s[12:13], 0
	s_cbranch_vccnz .LBB18_1430
; %bb.1420:
	s_cmp_gt_i32 s22, 14
	s_cbranch_scc0 .LBB18_1423
; %bb.1421:
	s_cmp_eq_u32 s22, 15
	s_cbranch_scc0 .LBB18_1426
; %bb.1422:
	global_load_ushort v5, v[3:4], off
	s_mov_b64 s[0:1], 0
	s_mov_b64 s[16:17], -1
	s_waitcnt vmcnt(0)
	v_lshlrev_b32_e32 v5, 16, v5
	s_branch .LBB18_1427
.LBB18_1423:
	s_mov_b64 s[18:19], -1
                                        ; implicit-def: $vgpr5
	s_branch .LBB18_1428
.LBB18_1424:
	s_or_saveexec_b64 s[16:17], s[16:17]
	v_mov_b32_e32 v5, 0x7f800001
	s_xor_b64 exec, exec, s[16:17]
	s_cbranch_execz .LBB18_1405
.LBB18_1425:
	v_cmp_ne_u16_e32 vcc, 0, v6
	s_andn2_b64 s[12:13], s[12:13], exec
	s_and_b64 s[18:19], vcc, exec
	v_mov_b32_e32 v5, 0
	s_or_b64 s[12:13], s[12:13], s[18:19]
	s_or_b64 exec, exec, s[16:17]
	s_and_saveexec_b64 s[16:17], s[12:13]
	s_cbranch_execnz .LBB18_1406
	s_branch .LBB18_1407
.LBB18_1426:
	s_mov_b64 s[0:1], -1
                                        ; implicit-def: $vgpr5
.LBB18_1427:
	s_mov_b64 s[18:19], 0
.LBB18_1428:
	s_and_b64 vcc, exec, s[18:19]
	s_cbranch_vccz .LBB18_1430
; %bb.1429:
	s_cmp_lg_u32 s22, 11
	s_mov_b64 s[12:13], -1
	s_cselect_b64 s[0:1], -1, 0
.LBB18_1430:
	s_and_b64 vcc, exec, s[0:1]
	s_cbranch_vccnz .LBB18_1505
; %bb.1431:
	s_andn2_b64 vcc, exec, s[12:13]
	s_cbranch_vccnz .LBB18_1433
.LBB18_1432:
	global_load_ubyte v5, v[3:4], off
	s_mov_b64 s[16:17], -1
	s_waitcnt vmcnt(0)
	v_cmp_ne_u16_e32 vcc, 0, v5
	v_cndmask_b32_e64 v5, 0, 1.0, vcc
.LBB18_1433:
	s_branch .LBB18_1361
.LBB18_1434:
	s_cmp_lt_i32 s22, 5
	s_cbranch_scc1 .LBB18_1439
; %bb.1435:
	s_cmp_lt_i32 s22, 8
	s_cbranch_scc1 .LBB18_1440
; %bb.1436:
	;; [unrolled: 3-line block ×3, first 2 shown]
	s_cmp_gt_i32 s22, 9
	s_cbranch_scc0 .LBB18_1442
; %bb.1438:
	global_load_dwordx2 v[5:6], v[3:4], off
	s_mov_b64 s[0:1], 0
	s_waitcnt vmcnt(0)
	v_cvt_f32_f64_e32 v5, v[5:6]
	s_branch .LBB18_1443
.LBB18_1439:
	s_mov_b64 s[0:1], -1
                                        ; implicit-def: $vgpr5
	s_branch .LBB18_1461
.LBB18_1440:
	s_mov_b64 s[0:1], -1
                                        ; implicit-def: $vgpr5
	s_branch .LBB18_1449
.LBB18_1441:
	s_mov_b64 s[0:1], -1
                                        ; implicit-def: $vgpr5
	s_branch .LBB18_1446
.LBB18_1442:
	s_mov_b64 s[0:1], -1
                                        ; implicit-def: $vgpr5
.LBB18_1443:
	s_andn2_b64 vcc, exec, s[0:1]
	s_cbranch_vccnz .LBB18_1445
; %bb.1444:
	global_load_dword v5, v[3:4], off
.LBB18_1445:
	s_mov_b64 s[0:1], 0
.LBB18_1446:
	s_andn2_b64 vcc, exec, s[0:1]
	s_cbranch_vccnz .LBB18_1448
; %bb.1447:
	global_load_dword v5, v[3:4], off
	s_waitcnt vmcnt(0)
	v_cvt_f32_f16_e32 v5, v5
.LBB18_1448:
	s_mov_b64 s[0:1], 0
.LBB18_1449:
	s_andn2_b64 vcc, exec, s[0:1]
	s_cbranch_vccnz .LBB18_1460
; %bb.1450:
	s_cmp_lt_i32 s22, 6
	s_cbranch_scc1 .LBB18_1453
; %bb.1451:
	s_cmp_gt_i32 s22, 6
	s_cbranch_scc0 .LBB18_1454
; %bb.1452:
	global_load_dwordx2 v[5:6], v[3:4], off
	s_mov_b64 s[0:1], 0
	s_waitcnt vmcnt(0)
	v_cvt_f32_f64_e32 v5, v[5:6]
	s_branch .LBB18_1455
.LBB18_1453:
	s_mov_b64 s[0:1], -1
                                        ; implicit-def: $vgpr5
	s_branch .LBB18_1458
.LBB18_1454:
	s_mov_b64 s[0:1], -1
                                        ; implicit-def: $vgpr5
.LBB18_1455:
	s_andn2_b64 vcc, exec, s[0:1]
	s_cbranch_vccnz .LBB18_1457
; %bb.1456:
	global_load_dword v5, v[3:4], off
.LBB18_1457:
	s_mov_b64 s[0:1], 0
.LBB18_1458:
	s_andn2_b64 vcc, exec, s[0:1]
	s_cbranch_vccnz .LBB18_1460
; %bb.1459:
	global_load_ushort v5, v[3:4], off
	s_waitcnt vmcnt(0)
	v_cvt_f32_f16_e32 v5, v5
.LBB18_1460:
	s_mov_b64 s[0:1], 0
.LBB18_1461:
	s_andn2_b64 vcc, exec, s[0:1]
	s_cbranch_vccnz .LBB18_1481
; %bb.1462:
	s_cmp_lt_i32 s22, 2
	s_cbranch_scc1 .LBB18_1466
; %bb.1463:
	s_cmp_lt_i32 s22, 3
	s_cbranch_scc1 .LBB18_1467
; %bb.1464:
	s_cmp_gt_i32 s22, 3
	s_cbranch_scc0 .LBB18_1468
; %bb.1465:
	global_load_dwordx2 v[5:6], v[3:4], off
	s_mov_b64 s[0:1], 0
	s_waitcnt vmcnt(0)
	v_xor_b32_e32 v9, v5, v6
	v_ffbh_i32_e32 v8, v6
	v_ashrrev_i32_e32 v9, 31, v9
	v_add_u32_e32 v8, -1, v8
	v_add_u32_e32 v9, 32, v9
	v_min_u32_e32 v8, v8, v9
	v_lshlrev_b64 v[5:6], v8, v[5:6]
	v_min_u32_e32 v5, 1, v5
	v_or_b32_e32 v5, v6, v5
	v_cvt_f32_i32_e32 v5, v5
	v_sub_u32_e32 v6, 32, v8
	v_ldexp_f32 v5, v5, v6
	s_branch .LBB18_1469
.LBB18_1466:
	s_mov_b64 s[0:1], -1
                                        ; implicit-def: $vgpr5
	s_branch .LBB18_1475
.LBB18_1467:
	s_mov_b64 s[0:1], -1
                                        ; implicit-def: $vgpr5
	s_branch .LBB18_1472
.LBB18_1468:
	s_mov_b64 s[0:1], -1
                                        ; implicit-def: $vgpr5
.LBB18_1469:
	s_andn2_b64 vcc, exec, s[0:1]
	s_cbranch_vccnz .LBB18_1471
; %bb.1470:
	global_load_dword v5, v[3:4], off
	s_waitcnt vmcnt(0)
	v_cvt_f32_i32_e32 v5, v5
.LBB18_1471:
	s_mov_b64 s[0:1], 0
.LBB18_1472:
	s_andn2_b64 vcc, exec, s[0:1]
	s_cbranch_vccnz .LBB18_1474
; %bb.1473:
	global_load_sshort v5, v[3:4], off
	s_waitcnt vmcnt(0)
	v_cvt_f32_i32_e32 v5, v5
.LBB18_1474:
	s_mov_b64 s[0:1], 0
.LBB18_1475:
	s_andn2_b64 vcc, exec, s[0:1]
	s_cbranch_vccnz .LBB18_1481
; %bb.1476:
	s_cmp_gt_i32 s22, 0
	s_cbranch_scc0 .LBB18_1478
; %bb.1477:
	global_load_sbyte v5, v[3:4], off
	s_mov_b64 s[0:1], 0
	s_waitcnt vmcnt(0)
	v_cvt_f32_i32_e32 v5, v5
	s_branch .LBB18_1479
.LBB18_1478:
	s_mov_b64 s[0:1], -1
                                        ; implicit-def: $vgpr5
.LBB18_1479:
	s_andn2_b64 vcc, exec, s[0:1]
	s_cbranch_vccnz .LBB18_1481
; %bb.1480:
	global_load_ubyte v3, v[3:4], off
	s_waitcnt vmcnt(0)
	v_cvt_f32_ubyte0_e32 v5, v3
.LBB18_1481:
.LBB18_1482:
	s_mov_b32 s0, 0x41000000
	s_waitcnt vmcnt(0)
	v_cmp_le_f32_e64 s[0:1], |v5|, s0
                                        ; implicit-def: $vgpr4
	s_and_saveexec_b64 s[12:13], s[0:1]
	s_xor_b64 s[12:13], exec, s[12:13]
	s_cbranch_execz .LBB18_1488
; %bb.1483:
	v_fma_f32 v3, |v5|, 0.5, -2.0
	v_mov_b32_e32 v4, 0xa3c2be86
	v_fmac_f32_e32 v4, 0x224cf950, v3
	v_mov_b32_e32 v6, 0xa24cf950
	v_fmac_f32_e32 v6, v3, v4
	v_add_f32_e32 v6, 0x25331f1f, v6
	v_fma_f32 v4, v3, v6, -v4
	v_add_f32_e32 v4, 0xa69f5554, v4
	v_fma_f32 v6, v3, v4, -v6
	;; [unrolled: 2-line block ×25, first 2 shown]
	v_add_f32_e32 v4, 0xbe34a688, v4
	s_mov_b32 s0, 0x3fb8aa3b
	v_fma_f32 v3, v3, v4, -v6
	v_mul_f32_e64 v4, |v5|, s0
	v_rndne_f32_e32 v8, v4
	v_sub_f32_e32 v9, v4, v8
	v_fma_f32 v4, |v5|, s0, -v4
	s_mov_b32 s0, 0x32a5705f
	v_fma_f32 v4, |v5|, s0, v4
	v_add_f32_e32 v4, v9, v4
	v_exp_f32_e32 v4, v4
	v_cvt_i32_f32_e32 v8, v8
	s_mov_b32 s0, 0xc2ce8ed0
	v_add_f32_e32 v3, 0x3e81531c, v3
	v_cmp_nlt_f32_e64 s[0:1], |v5|, s0
	v_ldexp_f32 v4, v4, v8
	v_sub_f32_e32 v3, v3, v6
	v_cndmask_b32_e64 v4, 0, v4, s[0:1]
	s_mov_b32 s0, 0x42b17218
	v_mul_f32_e32 v3, 0.5, v3
	v_mov_b32_e32 v6, 0x7f800000
	v_cmp_ngt_f32_e64 s[0:1], |v5|, s0
	v_cmp_ngt_f32_e32 vcc, 0, v5
	v_mul_f32_e64 v3, |v5|, v3
	v_cndmask_b32_e64 v5, v6, v4, s[0:1]
                                        ; implicit-def: $vgpr4
	s_and_saveexec_b64 s[0:1], vcc
	s_xor_b64 s[0:1], exec, s[0:1]
; %bb.1484:
	v_mul_f32_e32 v4, v5, v3
                                        ; implicit-def: $vgpr5
                                        ; implicit-def: $vgpr3
; %bb.1485:
	s_andn2_saveexec_b64 s[0:1], s[0:1]
; %bb.1486:
	v_mul_f32_e64 v4, v3, -v5
; %bb.1487:
	s_or_b64 exec, exec, s[0:1]
                                        ; implicit-def: $vgpr5
.LBB18_1488:
	s_andn2_saveexec_b64 s[12:13], s[12:13]
	s_cbranch_execz .LBB18_1494
; %bb.1489:
	v_and_b32_e32 v3, 0x7fffffff, v5
	s_mov_b32 s16, 0x42000000
	v_div_scale_f32 v4, s[0:1], v3, v3, s16
	v_div_scale_f32 v3, vcc, s16, v3, s16
	s_mov_b32 s17, 0x3fb8aa3b
	s_mov_b32 s18, 0x32a5705f
	v_mov_b32_e32 v6, 0x22a2dc57
	v_mov_b32_e32 v9, 0xa30aab6e
	v_cmp_ngt_f32_e64 s[0:1], 0, v5
	v_rcp_f32_e32 v8, v4
	v_fma_f32 v10, -v4, v8, 1.0
	v_fmac_f32_e32 v8, v10, v8
	v_mul_f32_e32 v10, v3, v8
	v_fma_f32 v11, -v4, v10, v3
	v_fmac_f32_e32 v10, v11, v8
	v_fma_f32 v3, -v4, v10, v3
	v_div_fmas_f32 v3, v3, v8, v10
	v_mul_f32_e64 v4, |v5|, s17
	v_rndne_f32_e32 v8, v4
	v_fma_f32 v10, |v5|, s17, -v4
	v_sub_f32_e32 v4, v4, v8
	v_fma_f32 v10, |v5|, s18, v10
	v_add_f32_e32 v4, v4, v10
	v_cvt_i32_f32_e32 v8, v8
	v_exp_f32_e32 v4, v4
	s_mov_b32 s17, 0xc2ce8ed0
	s_mov_b32 s18, 0x42b17218
	v_cmp_nlt_f32_e64 vcc, |v5|, s17
	v_ldexp_f32 v4, v4, v8
	v_mov_b32_e32 v10, 0x7f800000
	v_cndmask_b32_e32 v4, 0, v4, vcc
	v_cmp_ngt_f32_e64 vcc, |v5|, s18
	v_div_fixup_f32 v3, v3, |v5|, s16
	v_add_f32_e32 v3, -2.0, v3
	v_fmac_f32_e32 v6, 0x230aab6e, v3
	v_fmac_f32_e32 v9, v3, v6
	v_add_f32_e32 v8, 0xa456751e, v9
	v_fma_f32 v6, v3, v8, -v6
	v_add_f32_e32 v6, 0xa4140365, v6
	v_fma_f32 v8, v3, v6, -v8
	;; [unrolled: 2-line block ×22, first 2 shown]
	v_add_f32_e32 v6, 0x3f4750c6, v3
	v_cndmask_b32_e32 v3, v10, v4, vcc
	v_sub_f32_e32 v6, v6, v8
                                        ; implicit-def: $vgpr4
	s_and_saveexec_b64 s[16:17], s[0:1]
	s_xor_b64 s[16:17], exec, s[16:17]
	s_cbranch_execz .LBB18_1491
; %bb.1490:
	s_mov_b32 s0, 0xf800000
	s_mov_b32 s1, 0x4f800000
	v_mul_f32_e64 v4, |v5|, s1
	v_cmp_lt_f32_e64 vcc, |v5|, s0
	v_cndmask_b32_e64 v4, |v5|, v4, vcc
	v_sqrt_f32_e32 v5, v4
	v_mul_f32_e32 v6, 0.5, v6
	v_mul_f32_e32 v3, v3, v6
	v_add_u32_e32 v6, -1, v5
	v_fma_f32 v8, -v6, v5, v4
	v_cmp_ge_f32_e64 s[0:1], 0, v8
	v_add_u32_e32 v8, 1, v5
	v_cndmask_b32_e64 v6, v5, v6, s[0:1]
	v_fma_f32 v5, -v8, v5, v4
	v_cmp_lt_f32_e64 s[0:1], 0, v5
	v_cndmask_b32_e64 v5, v6, v8, s[0:1]
	v_mul_f32_e32 v6, 0x37800000, v5
	v_cndmask_b32_e32 v5, v5, v6, vcc
	v_mov_b32_e32 v6, 0x260
	v_cmp_class_f32_e32 vcc, v4, v6
	v_cndmask_b32_e32 v4, v5, v4, vcc
	v_div_scale_f32 v5, s[0:1], v4, v4, v3
	v_div_scale_f32 v6, vcc, v3, v4, v3
	v_rcp_f32_e32 v8, v5
	v_fma_f32 v9, -v5, v8, 1.0
	v_fmac_f32_e32 v8, v9, v8
	v_mul_f32_e32 v9, v6, v8
	v_fma_f32 v10, -v5, v9, v6
	v_fmac_f32_e32 v9, v10, v8
	v_fma_f32 v5, -v5, v9, v6
	v_div_fmas_f32 v5, v5, v8, v9
                                        ; implicit-def: $vgpr6
	v_div_fixup_f32 v4, v5, v4, v3
                                        ; implicit-def: $vgpr5
                                        ; implicit-def: $vgpr3
.LBB18_1491:
	s_andn2_saveexec_b64 s[16:17], s[16:17]
	s_cbranch_execz .LBB18_1493
; %bb.1492:
	s_mov_b32 s0, 0xf800000
	s_mov_b32 s1, 0x4f800000
	v_mul_f32_e64 v4, |v5|, s1
	v_cmp_lt_f32_e64 vcc, |v5|, s0
	v_cndmask_b32_e64 v4, |v5|, v4, vcc
	v_sqrt_f32_e32 v5, v4
	v_add_u32_e32 v8, -1, v5
	v_fma_f32 v9, -v8, v5, v4
	v_cmp_ge_f32_e64 s[0:1], 0, v9
	v_add_u32_e32 v9, 1, v5
	v_cndmask_b32_e64 v8, v5, v8, s[0:1]
	v_fma_f32 v5, -v9, v5, v4
	v_cmp_lt_f32_e64 s[0:1], 0, v5
	v_cndmask_b32_e64 v5, v8, v9, s[0:1]
	v_mul_f32_e32 v8, 0x37800000, v5
	v_cndmask_b32_e32 v5, v5, v8, vcc
	v_mov_b32_e32 v8, 0x260
	v_cmp_class_f32_e32 vcc, v4, v8
	v_cndmask_b32_e32 v4, v5, v4, vcc
	v_mul_f32_e32 v5, -0.5, v6
	v_mul_f32_e32 v3, v3, v5
	v_div_scale_f32 v5, s[0:1], v4, v4, v3
	v_div_scale_f32 v6, vcc, v3, v4, v3
	v_rcp_f32_e32 v8, v5
	v_fma_f32 v9, -v5, v8, 1.0
	v_fmac_f32_e32 v8, v9, v8
	v_mul_f32_e32 v9, v6, v8
	v_fma_f32 v10, -v5, v9, v6
	v_fmac_f32_e32 v9, v10, v8
	v_fma_f32 v5, -v5, v9, v6
	v_div_fmas_f32 v5, v5, v8, v9
	v_div_fixup_f32 v4, v5, v4, v3
.LBB18_1493:
	s_or_b64 exec, exec, s[16:17]
.LBB18_1494:
	s_or_b64 exec, exec, s[12:13]
	v_add_u32_e32 v1, s3, v1
	v_ashrrev_i32_e32 v3, 31, v1
	v_mov_b32_e32 v6, s11
	v_add_co_u32_e32 v5, vcc, s10, v1
	s_cmp_lt_i32 s22, 11
	v_addc_co_u32_e32 v6, vcc, v6, v3, vcc
	s_cbranch_scc1 .LBB18_1501
; %bb.1495:
	s_cmp_gt_i32 s22, 25
	s_mov_b64 s[10:11], 0
	s_cbranch_scc0 .LBB18_1502
; %bb.1496:
	s_cmp_gt_i32 s22, 28
	s_cbranch_scc0 .LBB18_1503
; %bb.1497:
	s_cmp_gt_i32 s22, 43
	;; [unrolled: 3-line block ×3, first 2 shown]
	s_cbranch_scc0 .LBB18_1506
; %bb.1499:
	s_cmp_eq_u32 s22, 46
	s_mov_b64 s[16:17], 0
	s_cbranch_scc0 .LBB18_1507
; %bb.1500:
	global_load_dword v1, v[5:6], off
	s_mov_b64 s[0:1], 0
	s_mov_b64 s[12:13], -1
	s_waitcnt vmcnt(0)
	v_lshlrev_b32_e32 v1, 16, v1
	s_branch .LBB18_1508
.LBB18_1501:
	s_mov_b64 s[0:1], -1
	s_mov_b64 s[12:13], 0
                                        ; implicit-def: $vgpr1
	s_branch .LBB18_1574
.LBB18_1502:
	s_mov_b64 s[16:17], -1
	s_mov_b64 s[12:13], 0
	s_mov_b64 s[0:1], 0
                                        ; implicit-def: $vgpr1
	s_branch .LBB18_1537
.LBB18_1503:
	s_mov_b64 s[16:17], -1
	s_mov_b64 s[12:13], 0
	s_mov_b64 s[0:1], 0
                                        ; implicit-def: $vgpr1
	s_branch .LBB18_1518
.LBB18_1504:
	s_mov_b64 s[16:17], -1
	s_mov_b64 s[12:13], 0
	s_mov_b64 s[0:1], 0
                                        ; implicit-def: $vgpr1
	s_branch .LBB18_1513
.LBB18_1505:
	s_trap 2
	s_or_b64 s[14:15], s[14:15], exec
	s_cbranch_execz .LBB18_1432
	s_branch .LBB18_1433
.LBB18_1506:
	s_mov_b64 s[16:17], -1
	s_mov_b64 s[12:13], 0
	s_mov_b64 s[0:1], 0
                                        ; implicit-def: $vgpr1
	s_branch .LBB18_1508
.LBB18_1507:
	s_mov_b64 s[0:1], -1
                                        ; implicit-def: $vgpr1
	s_mov_b64 s[12:13], 0
.LBB18_1508:
	s_and_b64 vcc, exec, s[16:17]
	s_cbranch_vccz .LBB18_1512
; %bb.1509:
	s_cmp_eq_u32 s22, 44
	s_cbranch_scc0 .LBB18_1511
; %bb.1510:
	global_load_ubyte v1, v[5:6], off
	s_movk_i32 s3, 0xff
	v_mov_b32_e32 v3, 0x7f800001
	v_mov_b32_e32 v8, 0x400000
	s_mov_b64 s[0:1], 0
	s_mov_b64 s[12:13], -1
	s_waitcnt vmcnt(0)
	v_lshlrev_b32_e32 v9, 23, v1
	v_cmp_ne_u32_e32 vcc, s3, v1
	v_cndmask_b32_e32 v3, v3, v9, vcc
	v_cmp_ne_u32_e32 vcc, 0, v1
	v_cndmask_b32_e32 v1, v8, v3, vcc
	s_branch .LBB18_1512
.LBB18_1511:
	s_mov_b64 s[0:1], -1
                                        ; implicit-def: $vgpr1
.LBB18_1512:
	s_mov_b64 s[16:17], 0
.LBB18_1513:
	s_and_b64 vcc, exec, s[16:17]
	s_cbranch_vccz .LBB18_1517
; %bb.1514:
	s_cmp_eq_u32 s22, 29
	s_cbranch_scc0 .LBB18_1516
; %bb.1515:
	global_load_dwordx2 v[8:9], v[5:6], off
	s_mov_b64 s[0:1], 0
	s_mov_b64 s[12:13], -1
	s_mov_b64 s[16:17], 0
	s_waitcnt vmcnt(0)
	v_ffbh_u32_e32 v1, v9
	v_min_u32_e32 v1, 32, v1
	v_lshlrev_b64 v[8:9], v1, v[8:9]
	v_sub_u32_e32 v1, 32, v1
	v_min_u32_e32 v3, 1, v8
	v_or_b32_e32 v3, v9, v3
	v_cvt_f32_u32_e32 v3, v3
	v_ldexp_f32 v1, v3, v1
	s_branch .LBB18_1518
.LBB18_1516:
	s_mov_b64 s[0:1], -1
                                        ; implicit-def: $vgpr1
.LBB18_1517:
	s_mov_b64 s[16:17], 0
.LBB18_1518:
	s_and_b64 vcc, exec, s[16:17]
	s_cbranch_vccz .LBB18_1536
; %bb.1519:
	s_cmp_lt_i32 s22, 27
	s_cbranch_scc1 .LBB18_1522
; %bb.1520:
	s_cmp_gt_i32 s22, 27
	s_cbranch_scc0 .LBB18_1523
; %bb.1521:
	global_load_dword v1, v[5:6], off
	s_mov_b64 s[12:13], 0
	s_waitcnt vmcnt(0)
	v_cvt_f32_u32_e32 v1, v1
	s_branch .LBB18_1524
.LBB18_1522:
	s_mov_b64 s[12:13], -1
                                        ; implicit-def: $vgpr1
	s_branch .LBB18_1527
.LBB18_1523:
	s_mov_b64 s[12:13], -1
                                        ; implicit-def: $vgpr1
.LBB18_1524:
	s_andn2_b64 vcc, exec, s[12:13]
	s_cbranch_vccnz .LBB18_1526
; %bb.1525:
	global_load_ushort v1, v[5:6], off
	s_waitcnt vmcnt(0)
	v_cvt_f32_u32_e32 v1, v1
.LBB18_1526:
	s_mov_b64 s[12:13], 0
.LBB18_1527:
	s_andn2_b64 vcc, exec, s[12:13]
	s_cbranch_vccnz .LBB18_1535
; %bb.1528:
	global_load_ubyte v3, v[5:6], off
	s_movk_i32 s3, 0x7f
	s_mov_b64 s[12:13], 0
	s_waitcnt vmcnt(0)
	v_cmp_lt_i16_e32 vcc, s3, v3
	s_and_saveexec_b64 s[16:17], vcc
	s_xor_b64 s[16:17], exec, s[16:17]
	s_cbranch_execz .LBB18_1549
; %bb.1529:
	s_movk_i32 s3, 0x80
	v_cmp_eq_u16_e32 vcc, s3, v3
	s_mov_b64 s[12:13], -1
	s_and_saveexec_b64 s[18:19], vcc
; %bb.1530:
	s_xor_b64 s[12:13], exec, -1
; %bb.1531:
	s_or_b64 exec, exec, s[18:19]
	s_and_b64 s[12:13], s[12:13], exec
	s_or_saveexec_b64 s[16:17], s[16:17]
	v_mov_b32_e32 v1, 0x7f800001
	s_xor_b64 exec, exec, s[16:17]
	s_cbranch_execnz .LBB18_1550
.LBB18_1532:
	s_or_b64 exec, exec, s[16:17]
	s_and_saveexec_b64 s[16:17], s[12:13]
	s_cbranch_execz .LBB18_1534
.LBB18_1533:
	v_lshlrev_b32_e32 v1, 24, v3
	v_and_b32_e32 v3, 0xffff, v3
	v_and_b32_e32 v8, 7, v3
	v_ffbh_u32_e32 v10, v8
	v_min_u32_e32 v10, 32, v10
	v_subrev_u32_e32 v11, 28, v10
	v_bfe_u32 v9, v3, 3, 4
	v_lshlrev_b32_e32 v3, v11, v3
	v_sub_u32_e32 v10, 29, v10
	v_and_b32_e32 v3, 7, v3
	v_cmp_eq_u32_e32 vcc, 0, v9
	v_cndmask_b32_e32 v9, v9, v10, vcc
	v_cndmask_b32_e32 v3, v8, v3, vcc
	v_mov_b32_e32 v8, 0x3b800000
	v_lshlrev_b32_e32 v3, 20, v3
	v_and_b32_e32 v1, 0x80000000, v1
	v_lshl_add_u32 v8, v9, 23, v8
	v_or3_b32 v1, v1, v8, v3
.LBB18_1534:
	s_or_b64 exec, exec, s[16:17]
.LBB18_1535:
	s_mov_b64 s[12:13], -1
.LBB18_1536:
	s_mov_b64 s[16:17], 0
.LBB18_1537:
	s_and_b64 vcc, exec, s[16:17]
	s_cbranch_vccz .LBB18_1570
; %bb.1538:
	s_cmp_gt_i32 s22, 22
	s_cbranch_scc0 .LBB18_1548
; %bb.1539:
	s_cmp_lt_i32 s22, 24
	s_cbranch_scc1 .LBB18_1551
; %bb.1540:
	s_cmp_gt_i32 s22, 24
	s_cbranch_scc0 .LBB18_1552
; %bb.1541:
	global_load_ubyte v3, v[5:6], off
	s_movk_i32 s3, 0x7f
	s_waitcnt vmcnt(0)
	v_cmp_lt_i16_e32 vcc, s3, v3
	s_and_saveexec_b64 s[12:13], vcc
	s_xor_b64 s[12:13], exec, s[12:13]
	s_cbranch_execz .LBB18_1564
; %bb.1542:
	s_movk_i32 s3, 0x80
	v_cmp_eq_u16_e32 vcc, s3, v3
	s_mov_b64 s[10:11], -1
	s_and_saveexec_b64 s[16:17], vcc
; %bb.1543:
	s_xor_b64 s[10:11], exec, -1
; %bb.1544:
	s_or_b64 exec, exec, s[16:17]
	s_and_b64 s[10:11], s[10:11], exec
	s_or_saveexec_b64 s[12:13], s[12:13]
	v_mov_b32_e32 v1, 0x7f800001
	s_xor_b64 exec, exec, s[12:13]
	s_cbranch_execnz .LBB18_1565
.LBB18_1545:
	s_or_b64 exec, exec, s[12:13]
	s_and_saveexec_b64 s[12:13], s[10:11]
	s_cbranch_execz .LBB18_1547
.LBB18_1546:
	v_lshlrev_b32_e32 v1, 24, v3
	v_and_b32_e32 v3, 0xffff, v3
	v_and_b32_e32 v8, 3, v3
	v_ffbh_u32_e32 v10, v8
	v_min_u32_e32 v10, 32, v10
	v_subrev_u32_e32 v11, 29, v10
	v_bfe_u32 v9, v3, 2, 5
	v_lshlrev_b32_e32 v3, v11, v3
	v_sub_u32_e32 v10, 30, v10
	v_and_b32_e32 v3, 3, v3
	v_cmp_eq_u32_e32 vcc, 0, v9
	v_cndmask_b32_e32 v9, v9, v10, vcc
	v_cndmask_b32_e32 v3, v8, v3, vcc
	v_mov_b32_e32 v8, 0x37800000
	v_lshlrev_b32_e32 v3, 21, v3
	v_and_b32_e32 v1, 0x80000000, v1
	v_lshl_add_u32 v8, v9, 23, v8
	v_or3_b32 v1, v1, v8, v3
.LBB18_1547:
	s_or_b64 exec, exec, s[12:13]
	s_mov_b64 s[10:11], 0
	s_branch .LBB18_1553
.LBB18_1548:
	s_mov_b64 s[10:11], -1
                                        ; implicit-def: $vgpr1
	s_branch .LBB18_1559
.LBB18_1549:
	s_or_saveexec_b64 s[16:17], s[16:17]
	v_mov_b32_e32 v1, 0x7f800001
	s_xor_b64 exec, exec, s[16:17]
	s_cbranch_execz .LBB18_1532
.LBB18_1550:
	v_cmp_ne_u16_e32 vcc, 0, v3
	s_andn2_b64 s[12:13], s[12:13], exec
	s_and_b64 s[18:19], vcc, exec
	v_mov_b32_e32 v1, 0
	s_or_b64 s[12:13], s[12:13], s[18:19]
	s_or_b64 exec, exec, s[16:17]
	s_and_saveexec_b64 s[16:17], s[12:13]
	s_cbranch_execnz .LBB18_1533
	s_branch .LBB18_1534
.LBB18_1551:
	s_mov_b64 s[10:11], -1
                                        ; implicit-def: $vgpr1
	s_branch .LBB18_1556
.LBB18_1552:
	s_mov_b64 s[10:11], -1
                                        ; implicit-def: $vgpr1
.LBB18_1553:
	s_and_b64 vcc, exec, s[10:11]
	s_cbranch_vccz .LBB18_1555
; %bb.1554:
	global_load_ubyte v1, v[5:6], off
	s_mov_b32 s3, 0x7f800000
	s_waitcnt vmcnt(0)
	v_lshlrev_b32_e32 v1, 24, v1
	v_and_b32_e32 v3, 0x7f000000, v1
	v_ffbh_u32_e32 v8, v3
	v_min_u32_e32 v8, 32, v8
	v_sub_u32_e64 v8, v8, 4 clamp
	v_lshlrev_b32_e32 v10, v8, v3
	v_lshlrev_b32_e32 v8, 23, v8
	v_lshrrev_b32_e32 v10, 4, v10
	v_add_u32_e32 v9, 0x1000000, v3
	v_sub_u32_e32 v8, v10, v8
	v_ashrrev_i32_e32 v9, 8, v9
	v_add_u32_e32 v8, 0x3c000000, v8
	v_and_or_b32 v8, v9, s3, v8
	v_cmp_ne_u32_e32 vcc, 0, v3
	v_cndmask_b32_e32 v3, 0, v8, vcc
	s_brev_b32 s3, 1
	v_and_or_b32 v1, v1, s3, v3
.LBB18_1555:
	s_mov_b64 s[10:11], 0
.LBB18_1556:
	s_andn2_b64 vcc, exec, s[10:11]
	s_cbranch_vccnz .LBB18_1558
; %bb.1557:
	global_load_ubyte v1, v[5:6], off
	s_movk_i32 s3, 0x7f00
	s_brev_b32 s10, 16
	s_waitcnt vmcnt(0)
	v_lshlrev_b16_e32 v3, 8, v1
	v_lshlrev_b32_e32 v1, 25, v1
	v_lshrrev_b32_e32 v8, 4, v1
	v_and_or_b32 v9, v3, s3, 0.5
	v_or_b32_e32 v8, 0x70000000, v8
	v_add_f32_e32 v9, -0.5, v9
	v_mul_f32_e32 v8, 0x7800000, v8
	v_cmp_gt_u32_e32 vcc, s10, v1
	v_bfe_i32 v3, v3, 0, 16
	v_cndmask_b32_e32 v1, v8, v9, vcc
	s_brev_b32 s3, 1
	v_and_or_b32 v1, v3, s3, v1
.LBB18_1558:
	s_mov_b64 s[10:11], 0
	s_mov_b64 s[12:13], -1
.LBB18_1559:
	s_andn2_b64 vcc, exec, s[10:11]
	s_mov_b64 s[10:11], 0
	s_cbranch_vccnz .LBB18_1570
; %bb.1560:
	s_cmp_gt_i32 s22, 14
	s_cbranch_scc0 .LBB18_1563
; %bb.1561:
	s_cmp_eq_u32 s22, 15
	s_cbranch_scc0 .LBB18_1566
; %bb.1562:
	global_load_ushort v1, v[5:6], off
	s_mov_b64 s[0:1], 0
	s_mov_b64 s[12:13], -1
	s_waitcnt vmcnt(0)
	v_lshlrev_b32_e32 v1, 16, v1
	s_branch .LBB18_1567
.LBB18_1563:
	s_mov_b64 s[16:17], -1
                                        ; implicit-def: $vgpr1
	s_branch .LBB18_1568
.LBB18_1564:
	s_or_saveexec_b64 s[12:13], s[12:13]
	v_mov_b32_e32 v1, 0x7f800001
	s_xor_b64 exec, exec, s[12:13]
	s_cbranch_execz .LBB18_1545
.LBB18_1565:
	v_cmp_ne_u16_e32 vcc, 0, v3
	s_andn2_b64 s[10:11], s[10:11], exec
	s_and_b64 s[16:17], vcc, exec
	v_mov_b32_e32 v1, 0
	s_or_b64 s[10:11], s[10:11], s[16:17]
	s_or_b64 exec, exec, s[12:13]
	s_and_saveexec_b64 s[12:13], s[10:11]
	s_cbranch_execnz .LBB18_1546
	s_branch .LBB18_1547
.LBB18_1566:
	s_mov_b64 s[0:1], -1
                                        ; implicit-def: $vgpr1
.LBB18_1567:
	s_mov_b64 s[16:17], 0
.LBB18_1568:
	s_and_b64 vcc, exec, s[16:17]
	s_cbranch_vccz .LBB18_1570
; %bb.1569:
	s_cmp_lg_u32 s22, 11
	s_mov_b64 s[10:11], -1
	s_cselect_b64 s[0:1], -1, 0
.LBB18_1570:
	s_and_b64 vcc, exec, s[0:1]
	s_cbranch_vccnz .LBB18_2117
; %bb.1571:
	s_andn2_b64 vcc, exec, s[10:11]
	s_cbranch_vccnz .LBB18_1573
.LBB18_1572:
	global_load_ubyte v1, v[5:6], off
	s_mov_b64 s[12:13], -1
	s_waitcnt vmcnt(0)
	v_cmp_ne_u16_e32 vcc, 0, v1
	v_cndmask_b32_e64 v1, 0, 1.0, vcc
.LBB18_1573:
	s_mov_b64 s[0:1], 0
.LBB18_1574:
	s_and_b64 vcc, exec, s[0:1]
	s_cbranch_vccz .LBB18_1623
; %bb.1575:
	s_cmp_lt_i32 s22, 5
	s_cbranch_scc1 .LBB18_1580
; %bb.1576:
	s_cmp_lt_i32 s22, 8
	s_cbranch_scc1 .LBB18_1581
	;; [unrolled: 3-line block ×3, first 2 shown]
; %bb.1578:
	s_cmp_gt_i32 s22, 9
	s_cbranch_scc0 .LBB18_1583
; %bb.1579:
	global_load_dwordx2 v[8:9], v[5:6], off
	s_mov_b64 s[0:1], 0
	s_waitcnt vmcnt(0)
	v_cvt_f32_f64_e32 v1, v[8:9]
	s_branch .LBB18_1584
.LBB18_1580:
	s_mov_b64 s[0:1], -1
                                        ; implicit-def: $vgpr1
	s_branch .LBB18_1602
.LBB18_1581:
	s_mov_b64 s[0:1], -1
                                        ; implicit-def: $vgpr1
	s_branch .LBB18_1590
.LBB18_1582:
	s_mov_b64 s[0:1], -1
                                        ; implicit-def: $vgpr1
	s_branch .LBB18_1587
.LBB18_1583:
	s_mov_b64 s[0:1], -1
                                        ; implicit-def: $vgpr1
.LBB18_1584:
	s_andn2_b64 vcc, exec, s[0:1]
	s_cbranch_vccnz .LBB18_1586
; %bb.1585:
	global_load_dword v1, v[5:6], off
.LBB18_1586:
	s_mov_b64 s[0:1], 0
.LBB18_1587:
	s_andn2_b64 vcc, exec, s[0:1]
	s_cbranch_vccnz .LBB18_1589
; %bb.1588:
	global_load_dword v1, v[5:6], off
	s_waitcnt vmcnt(0)
	v_cvt_f32_f16_e32 v1, v1
.LBB18_1589:
	s_mov_b64 s[0:1], 0
.LBB18_1590:
	s_andn2_b64 vcc, exec, s[0:1]
	s_cbranch_vccnz .LBB18_1601
; %bb.1591:
	s_cmp_lt_i32 s22, 6
	s_cbranch_scc1 .LBB18_1594
; %bb.1592:
	s_cmp_gt_i32 s22, 6
	s_cbranch_scc0 .LBB18_1595
; %bb.1593:
	global_load_dwordx2 v[8:9], v[5:6], off
	s_mov_b64 s[0:1], 0
	s_waitcnt vmcnt(0)
	v_cvt_f32_f64_e32 v1, v[8:9]
	s_branch .LBB18_1596
.LBB18_1594:
	s_mov_b64 s[0:1], -1
                                        ; implicit-def: $vgpr1
	s_branch .LBB18_1599
.LBB18_1595:
	s_mov_b64 s[0:1], -1
                                        ; implicit-def: $vgpr1
.LBB18_1596:
	s_andn2_b64 vcc, exec, s[0:1]
	s_cbranch_vccnz .LBB18_1598
; %bb.1597:
	global_load_dword v1, v[5:6], off
.LBB18_1598:
	s_mov_b64 s[0:1], 0
.LBB18_1599:
	s_andn2_b64 vcc, exec, s[0:1]
	s_cbranch_vccnz .LBB18_1601
; %bb.1600:
	global_load_ushort v1, v[5:6], off
	s_waitcnt vmcnt(0)
	v_cvt_f32_f16_e32 v1, v1
.LBB18_1601:
	s_mov_b64 s[0:1], 0
.LBB18_1602:
	s_andn2_b64 vcc, exec, s[0:1]
	s_cbranch_vccnz .LBB18_1622
; %bb.1603:
	s_cmp_lt_i32 s22, 2
	s_cbranch_scc1 .LBB18_1607
; %bb.1604:
	s_cmp_lt_i32 s22, 3
	s_cbranch_scc1 .LBB18_1608
; %bb.1605:
	s_cmp_gt_i32 s22, 3
	s_cbranch_scc0 .LBB18_1609
; %bb.1606:
	global_load_dwordx2 v[8:9], v[5:6], off
	s_mov_b64 s[0:1], 0
	s_waitcnt vmcnt(0)
	v_xor_b32_e32 v3, v8, v9
	v_ffbh_i32_e32 v1, v9
	v_ashrrev_i32_e32 v3, 31, v3
	v_add_u32_e32 v1, -1, v1
	v_add_u32_e32 v3, 32, v3
	v_min_u32_e32 v1, v1, v3
	v_lshlrev_b64 v[8:9], v1, v[8:9]
	v_sub_u32_e32 v1, 32, v1
	v_min_u32_e32 v3, 1, v8
	v_or_b32_e32 v3, v9, v3
	v_cvt_f32_i32_e32 v3, v3
	v_ldexp_f32 v1, v3, v1
	s_branch .LBB18_1610
.LBB18_1607:
	s_mov_b64 s[0:1], -1
                                        ; implicit-def: $vgpr1
	s_branch .LBB18_1616
.LBB18_1608:
	s_mov_b64 s[0:1], -1
                                        ; implicit-def: $vgpr1
	s_branch .LBB18_1613
.LBB18_1609:
	s_mov_b64 s[0:1], -1
                                        ; implicit-def: $vgpr1
.LBB18_1610:
	s_andn2_b64 vcc, exec, s[0:1]
	s_cbranch_vccnz .LBB18_1612
; %bb.1611:
	global_load_dword v1, v[5:6], off
	s_waitcnt vmcnt(0)
	v_cvt_f32_i32_e32 v1, v1
.LBB18_1612:
	s_mov_b64 s[0:1], 0
.LBB18_1613:
	s_andn2_b64 vcc, exec, s[0:1]
	s_cbranch_vccnz .LBB18_1615
; %bb.1614:
	global_load_sshort v1, v[5:6], off
	s_waitcnt vmcnt(0)
	v_cvt_f32_i32_e32 v1, v1
.LBB18_1615:
	s_mov_b64 s[0:1], 0
.LBB18_1616:
	s_andn2_b64 vcc, exec, s[0:1]
	s_cbranch_vccnz .LBB18_1622
; %bb.1617:
	s_cmp_gt_i32 s22, 0
	s_cbranch_scc0 .LBB18_1619
; %bb.1618:
	global_load_sbyte v1, v[5:6], off
	s_mov_b64 s[0:1], 0
	s_waitcnt vmcnt(0)
	v_cvt_f32_i32_e32 v1, v1
	s_branch .LBB18_1620
.LBB18_1619:
	s_mov_b64 s[0:1], -1
                                        ; implicit-def: $vgpr1
.LBB18_1620:
	s_andn2_b64 vcc, exec, s[0:1]
	s_cbranch_vccnz .LBB18_1622
; %bb.1621:
	global_load_ubyte v1, v[5:6], off
	s_waitcnt vmcnt(0)
	v_cvt_f32_ubyte0_e32 v1, v1
.LBB18_1622:
	s_mov_b64 s[12:13], -1
.LBB18_1623:
	s_andn2_b64 vcc, exec, s[12:13]
	s_cbranch_vccnz .LBB18_1714
; %bb.1624:
	s_mov_b32 s0, 0x41000000
	s_waitcnt vmcnt(0)
	v_cmp_le_f32_e64 s[0:1], |v1|, s0
                                        ; implicit-def: $vgpr6
	s_and_saveexec_b64 s[10:11], s[0:1]
	s_xor_b64 s[10:11], exec, s[10:11]
	s_cbranch_execz .LBB18_1630
; %bb.1625:
	v_fma_f32 v3, |v1|, 0.5, -2.0
	v_mov_b32_e32 v5, 0xa3c2be86
	v_fmac_f32_e32 v5, 0x224cf950, v3
	v_mov_b32_e32 v6, 0xa24cf950
	v_fmac_f32_e32 v6, v3, v5
	v_add_f32_e32 v6, 0x25331f1f, v6
	v_fma_f32 v5, v3, v6, -v5
	v_add_f32_e32 v5, 0xa69f5554, v5
	v_fma_f32 v6, v3, v5, -v6
	;; [unrolled: 2-line block ×25, first 2 shown]
	v_add_f32_e32 v5, 0xbe34a688, v5
	s_mov_b32 s0, 0x3fb8aa3b
	v_fma_f32 v3, v3, v5, -v6
	v_mul_f32_e64 v5, |v1|, s0
	v_rndne_f32_e32 v8, v5
	v_sub_f32_e32 v9, v5, v8
	v_fma_f32 v5, |v1|, s0, -v5
	s_mov_b32 s0, 0x32a5705f
	v_fma_f32 v5, |v1|, s0, v5
	v_add_f32_e32 v5, v9, v5
	v_exp_f32_e32 v5, v5
	v_cvt_i32_f32_e32 v8, v8
	s_mov_b32 s0, 0xc2ce8ed0
	v_add_f32_e32 v3, 0x3e81531c, v3
	v_cmp_nlt_f32_e64 s[0:1], |v1|, s0
	v_ldexp_f32 v5, v5, v8
	v_sub_f32_e32 v3, v3, v6
	v_cndmask_b32_e64 v5, 0, v5, s[0:1]
	s_mov_b32 s0, 0x42b17218
	v_mul_f32_e32 v3, 0.5, v3
	v_mov_b32_e32 v6, 0x7f800000
	v_cmp_ngt_f32_e64 s[0:1], |v1|, s0
	v_cmp_ngt_f32_e32 vcc, 0, v1
	v_mul_f32_e64 v3, |v1|, v3
	v_cndmask_b32_e64 v1, v6, v5, s[0:1]
                                        ; implicit-def: $vgpr6
	s_and_saveexec_b64 s[0:1], vcc
	s_xor_b64 s[0:1], exec, s[0:1]
; %bb.1626:
	v_mul_f32_e32 v6, v1, v3
                                        ; implicit-def: $vgpr1
                                        ; implicit-def: $vgpr3
; %bb.1627:
	s_andn2_saveexec_b64 s[0:1], s[0:1]
; %bb.1628:
	v_mul_f32_e64 v6, v3, -v1
; %bb.1629:
	s_or_b64 exec, exec, s[0:1]
                                        ; implicit-def: $vgpr1
.LBB18_1630:
	s_andn2_saveexec_b64 s[10:11], s[10:11]
	s_cbranch_execz .LBB18_1636
; %bb.1631:
	v_and_b32_e32 v3, 0x7fffffff, v1
	s_mov_b32 s3, 0x42000000
	v_div_scale_f32 v5, s[0:1], v3, v3, s3
	v_div_scale_f32 v3, vcc, s3, v3, s3
	s_mov_b32 s12, 0x3fb8aa3b
	s_mov_b32 s13, 0x32a5705f
	v_mov_b32_e32 v6, 0x22a2dc57
	v_mov_b32_e32 v9, 0xa30aab6e
	v_cmp_ngt_f32_e64 s[0:1], 0, v1
	v_rcp_f32_e32 v8, v5
	v_fma_f32 v10, -v5, v8, 1.0
	v_fmac_f32_e32 v8, v10, v8
	v_mul_f32_e32 v10, v3, v8
	v_fma_f32 v11, -v5, v10, v3
	v_fmac_f32_e32 v10, v11, v8
	v_fma_f32 v3, -v5, v10, v3
	v_div_fmas_f32 v3, v3, v8, v10
	v_mul_f32_e64 v5, |v1|, s12
	v_rndne_f32_e32 v8, v5
	v_fma_f32 v10, |v1|, s12, -v5
	v_sub_f32_e32 v5, v5, v8
	v_fma_f32 v10, |v1|, s13, v10
	v_add_f32_e32 v5, v5, v10
	v_cvt_i32_f32_e32 v8, v8
	v_exp_f32_e32 v5, v5
	s_mov_b32 s12, 0xc2ce8ed0
	s_mov_b32 s13, 0x42b17218
	v_cmp_nlt_f32_e64 vcc, |v1|, s12
	v_ldexp_f32 v5, v5, v8
	v_mov_b32_e32 v10, 0x7f800000
	v_cndmask_b32_e32 v5, 0, v5, vcc
	v_cmp_ngt_f32_e64 vcc, |v1|, s13
	v_div_fixup_f32 v3, v3, |v1|, s3
	v_add_f32_e32 v3, -2.0, v3
	v_fmac_f32_e32 v6, 0x230aab6e, v3
	v_fmac_f32_e32 v9, v3, v6
	v_add_f32_e32 v8, 0xa456751e, v9
	v_fma_f32 v6, v3, v8, -v6
	v_add_f32_e32 v6, 0xa4140365, v6
	v_fma_f32 v8, v3, v6, -v8
	;; [unrolled: 2-line block ×22, first 2 shown]
	v_add_f32_e32 v6, 0x3f4750c6, v3
	v_cndmask_b32_e32 v3, v10, v5, vcc
	v_sub_f32_e32 v5, v6, v8
                                        ; implicit-def: $vgpr6
	s_and_saveexec_b64 s[12:13], s[0:1]
	s_xor_b64 s[12:13], exec, s[12:13]
	s_cbranch_execz .LBB18_1633
; %bb.1632:
	s_mov_b32 s0, 0xf800000
	s_mov_b32 s1, 0x4f800000
	v_mul_f32_e64 v6, |v1|, s1
	v_cmp_lt_f32_e64 vcc, |v1|, s0
	v_cndmask_b32_e64 v1, |v1|, v6, vcc
	v_sqrt_f32_e32 v6, v1
	v_mul_f32_e32 v5, 0.5, v5
	v_mul_f32_e32 v3, v3, v5
	v_add_u32_e32 v5, -1, v6
	v_fma_f32 v8, -v5, v6, v1
	v_cmp_ge_f32_e64 s[0:1], 0, v8
	v_add_u32_e32 v8, 1, v6
	v_cndmask_b32_e64 v5, v6, v5, s[0:1]
	v_fma_f32 v6, -v8, v6, v1
	v_cmp_lt_f32_e64 s[0:1], 0, v6
	v_cndmask_b32_e64 v5, v5, v8, s[0:1]
	v_mul_f32_e32 v6, 0x37800000, v5
	v_cndmask_b32_e32 v5, v5, v6, vcc
	v_mov_b32_e32 v6, 0x260
	v_cmp_class_f32_e32 vcc, v1, v6
	v_cndmask_b32_e32 v1, v5, v1, vcc
	v_div_scale_f32 v5, s[0:1], v1, v1, v3
	v_div_scale_f32 v6, vcc, v3, v1, v3
	v_rcp_f32_e32 v8, v5
	v_fma_f32 v9, -v5, v8, 1.0
	v_fmac_f32_e32 v8, v9, v8
	v_mul_f32_e32 v9, v6, v8
	v_fma_f32 v10, -v5, v9, v6
	v_fmac_f32_e32 v9, v10, v8
	v_fma_f32 v5, -v5, v9, v6
	v_div_fmas_f32 v5, v5, v8, v9
	v_div_fixup_f32 v6, v5, v1, v3
                                        ; implicit-def: $vgpr1
                                        ; implicit-def: $vgpr5
                                        ; implicit-def: $vgpr3
.LBB18_1633:
	s_andn2_saveexec_b64 s[12:13], s[12:13]
	s_cbranch_execz .LBB18_1635
; %bb.1634:
	s_mov_b32 s0, 0xf800000
	s_mov_b32 s1, 0x4f800000
	v_mul_f32_e64 v6, |v1|, s1
	v_cmp_lt_f32_e64 vcc, |v1|, s0
	v_cndmask_b32_e64 v1, |v1|, v6, vcc
	v_sqrt_f32_e32 v6, v1
	v_mul_f32_e32 v5, -0.5, v5
	v_mul_f32_e32 v3, v3, v5
	v_add_u32_e32 v8, -1, v6
	v_fma_f32 v9, -v8, v6, v1
	v_cmp_ge_f32_e64 s[0:1], 0, v9
	v_add_u32_e32 v9, 1, v6
	v_cndmask_b32_e64 v8, v6, v8, s[0:1]
	v_fma_f32 v6, -v9, v6, v1
	v_cmp_lt_f32_e64 s[0:1], 0, v6
	v_cndmask_b32_e64 v6, v8, v9, s[0:1]
	v_mul_f32_e32 v8, 0x37800000, v6
	v_cndmask_b32_e32 v6, v6, v8, vcc
	v_mov_b32_e32 v8, 0x260
	v_cmp_class_f32_e32 vcc, v1, v8
	v_cndmask_b32_e32 v1, v6, v1, vcc
	v_div_scale_f32 v5, s[0:1], v1, v1, v3
	v_div_scale_f32 v6, vcc, v3, v1, v3
	v_rcp_f32_e32 v8, v5
	v_fma_f32 v9, -v5, v8, 1.0
	v_fmac_f32_e32 v8, v9, v8
	v_mul_f32_e32 v9, v6, v8
	v_fma_f32 v10, -v5, v9, v6
	v_fmac_f32_e32 v9, v10, v8
	v_fma_f32 v5, -v5, v9, v6
	v_div_fmas_f32 v5, v5, v8, v9
	v_div_fixup_f32 v6, v5, v1, v3
.LBB18_1635:
	s_or_b64 exec, exec, s[12:13]
.LBB18_1636:
	s_or_b64 exec, exec, s[10:11]
	v_mul_lo_u32 v3, s2, v7
	v_mov_b32_e32 v1, s9
	s_and_b32 s20, s33, 0xff
	s_cmp_lt_i32 s20, 11
	v_ashrrev_i32_e32 v5, 31, v3
	v_add_co_u32_e32 v7, vcc, s8, v3
	v_addc_co_u32_e32 v8, vcc, v1, v5, vcc
	s_cbranch_scc1 .LBB18_1760
; %bb.1637:
	s_and_b32 s3, 0xffff, s20
	s_mov_b64 s[16:17], -1
	s_mov_b64 s[10:11], 0
	s_cmp_gt_i32 s3, 25
	s_mov_b64 s[12:13], 0
	s_mov_b64 s[0:1], 0
	s_cbranch_scc0 .LBB18_1670
; %bb.1638:
	s_cmp_gt_i32 s3, 28
	s_cbranch_scc0 .LBB18_1653
; %bb.1639:
	s_cmp_gt_i32 s3, 43
	;; [unrolled: 3-line block ×3, first 2 shown]
	s_cbranch_scc0 .LBB18_1643
; %bb.1641:
	s_mov_b64 s[0:1], -1
	s_mov_b64 s[16:17], 0
	s_cmp_eq_u32 s3, 46
	s_cbranch_scc0 .LBB18_1643
; %bb.1642:
	v_bfe_u32 v1, v0, 16, 1
	s_movk_i32 s0, 0x7fff
	v_add3_u32 v1, v0, v1, s0
	v_cmp_o_f32_e32 vcc, v0, v0
	v_mov_b32_e32 v5, 0x7fc0
	v_cndmask_b32_sdwa v1, v5, v1, vcc dst_sel:DWORD dst_unused:UNUSED_PAD src0_sel:DWORD src1_sel:WORD_1
	global_store_dword v[7:8], v1, off
	s_mov_b64 s[0:1], 0
	s_mov_b64 s[12:13], -1
.LBB18_1643:
	s_and_b64 vcc, exec, s[16:17]
	s_cbranch_vccz .LBB18_1648
; %bb.1644:
	s_cmp_eq_u32 s3, 44
	s_mov_b64 s[0:1], -1
	s_cbranch_scc0 .LBB18_1648
; %bb.1645:
	v_bfe_u32 v1, v0, 23, 8
	s_movk_i32 s0, 0xff
	v_cmp_ne_u32_e32 vcc, s0, v1
	v_mov_b32_e32 v5, 0xff
	s_and_saveexec_b64 s[12:13], vcc
; %bb.1646:
	s_mov_b32 s0, 0x3fffff
	v_and_b32_e32 v9, 0x400000, v0
	v_and_or_b32 v1, v0, s0, v1
	v_cmp_ne_u32_e32 vcc, 0, v9
	v_cmp_ne_u32_e64 s[0:1], 0, v1
	s_and_b64 s[0:1], vcc, s[0:1]
	v_lshrrev_b32_e32 v5, 23, v0
	v_cndmask_b32_e64 v1, 0, 1, s[0:1]
	v_add_u32_e32 v5, v5, v1
; %bb.1647:
	s_or_b64 exec, exec, s[12:13]
	s_mov_b64 s[0:1], 0
	s_mov_b64 s[12:13], -1
	global_store_byte v[7:8], v5, off
.LBB18_1648:
	s_mov_b64 s[16:17], 0
.LBB18_1649:
	s_and_b64 vcc, exec, s[16:17]
	s_cbranch_vccz .LBB18_1652
; %bb.1650:
	s_cmp_eq_u32 s3, 29
	s_mov_b64 s[0:1], -1
	s_cbranch_scc0 .LBB18_1652
; %bb.1651:
	v_trunc_f32_e32 v1, v0
	v_mul_f32_e32 v5, 0x2f800000, v1
	v_floor_f32_e32 v5, v5
	v_fmac_f32_e32 v1, 0xcf800000, v5
	v_cvt_u32_f32_e32 v10, v5
	v_cvt_u32_f32_e32 v9, v1
	s_mov_b64 s[0:1], 0
	s_mov_b64 s[12:13], -1
	global_store_dwordx2 v[7:8], v[9:10], off
.LBB18_1652:
	s_mov_b64 s[16:17], 0
.LBB18_1653:
	s_and_b64 vcc, exec, s[16:17]
	s_cbranch_vccz .LBB18_1669
; %bb.1654:
	s_cmp_lt_i32 s3, 27
	s_mov_b64 s[12:13], -1
	s_cbranch_scc1 .LBB18_1660
; %bb.1655:
	v_cvt_u32_f32_e32 v1, v0
	s_cmp_gt_i32 s3, 27
	s_cbranch_scc0 .LBB18_1657
; %bb.1656:
	s_mov_b64 s[12:13], 0
	global_store_dword v[7:8], v1, off
.LBB18_1657:
	s_andn2_b64 vcc, exec, s[12:13]
	s_cbranch_vccnz .LBB18_1659
; %bb.1658:
	global_store_short v[7:8], v1, off
.LBB18_1659:
	s_mov_b64 s[12:13], 0
.LBB18_1660:
	s_andn2_b64 vcc, exec, s[12:13]
	s_cbranch_vccnz .LBB18_1668
; %bb.1661:
	v_and_b32_e32 v1, 0x7fffffff, v0
	s_mov_b32 s12, 0x43800000
	v_cmp_gt_u32_e32 vcc, s12, v1
	v_mov_b32_e32 v5, 0x80
	s_and_saveexec_b64 s[12:13], vcc
	s_cbranch_execz .LBB18_1667
; %bb.1662:
	s_mov_b32 s16, 0x3bffffff
	v_cmp_lt_u32_e32 vcc, s16, v1
	s_mov_b64 s[16:17], 0
                                        ; implicit-def: $vgpr1
	s_and_saveexec_b64 s[18:19], vcc
	s_xor_b64 s[18:19], exec, s[18:19]
	s_cbranch_execz .LBB18_2118
; %bb.1663:
	v_bfe_u32 v1, v0, 20, 1
	s_mov_b32 s21, 0x487ffff
	v_add3_u32 v1, v0, v1, s21
	s_mov_b64 s[16:17], exec
	v_lshrrev_b32_e32 v1, 20, v1
	s_andn2_saveexec_b64 s[18:19], s[18:19]
	s_cbranch_execnz .LBB18_2119
.LBB18_1664:
	s_or_b64 exec, exec, s[18:19]
	v_mov_b32_e32 v5, 0
	s_and_saveexec_b64 s[18:19], s[16:17]
.LBB18_1665:
	v_lshrrev_b32_e32 v5, 24, v0
	s_movk_i32 s16, 0x80
	v_and_or_b32 v5, v5, s16, v1
.LBB18_1666:
	s_or_b64 exec, exec, s[18:19]
.LBB18_1667:
	s_or_b64 exec, exec, s[12:13]
	global_store_byte v[7:8], v5, off
.LBB18_1668:
	s_mov_b64 s[12:13], -1
.LBB18_1669:
	s_mov_b64 s[16:17], 0
.LBB18_1670:
	s_and_b64 vcc, exec, s[16:17]
	s_cbranch_vccz .LBB18_1710
; %bb.1671:
	s_cmp_gt_i32 s3, 22
	s_mov_b64 s[10:11], -1
	s_cbranch_scc0 .LBB18_1703
; %bb.1672:
	s_cmp_lt_i32 s3, 24
	s_cbranch_scc1 .LBB18_1692
; %bb.1673:
	s_cmp_gt_i32 s3, 24
	s_cbranch_scc0 .LBB18_1681
; %bb.1674:
	v_and_b32_e32 v1, 0x7fffffff, v0
	s_mov_b32 s10, 0x47800000
	v_cmp_gt_u32_e32 vcc, s10, v1
	v_mov_b32_e32 v5, 0x80
	s_and_saveexec_b64 s[10:11], vcc
	s_cbranch_execz .LBB18_1680
; %bb.1675:
	s_mov_b32 s12, 0x37ffffff
	v_cmp_lt_u32_e32 vcc, s12, v1
	s_mov_b64 s[12:13], 0
                                        ; implicit-def: $vgpr1
	s_and_saveexec_b64 s[16:17], vcc
	s_xor_b64 s[16:17], exec, s[16:17]
	s_cbranch_execz .LBB18_2121
; %bb.1676:
	v_bfe_u32 v1, v0, 21, 1
	s_mov_b32 s18, 0x88fffff
	v_add3_u32 v1, v0, v1, s18
	s_mov_b64 s[12:13], exec
	v_lshrrev_b32_e32 v1, 21, v1
	s_andn2_saveexec_b64 s[16:17], s[16:17]
	s_cbranch_execnz .LBB18_2122
.LBB18_1677:
	s_or_b64 exec, exec, s[16:17]
	v_mov_b32_e32 v5, 0
	s_and_saveexec_b64 s[16:17], s[12:13]
.LBB18_1678:
	v_lshrrev_b32_e32 v5, 24, v0
	s_movk_i32 s12, 0x80
	v_and_or_b32 v5, v5, s12, v1
.LBB18_1679:
	s_or_b64 exec, exec, s[16:17]
.LBB18_1680:
	s_or_b64 exec, exec, s[10:11]
	s_mov_b64 s[10:11], 0
	global_store_byte v[7:8], v5, off
.LBB18_1681:
	s_and_b64 vcc, exec, s[10:11]
	s_cbranch_vccz .LBB18_1691
; %bb.1682:
	v_and_b32_e32 v5, 0x7fffffff, v0
	s_mov_b32 s10, 0x43f00000
	v_cmp_gt_u32_e32 vcc, s10, v5
                                        ; implicit-def: $vgpr1
	s_and_saveexec_b64 s[10:11], vcc
	s_xor_b64 s[10:11], exec, s[10:11]
	s_cbranch_execz .LBB18_1688
; %bb.1683:
	s_mov_b32 s12, 0x3c7fffff
	v_cmp_lt_u32_e32 vcc, s12, v5
                                        ; implicit-def: $vgpr1
	s_and_saveexec_b64 s[12:13], vcc
	s_xor_b64 s[12:13], exec, s[12:13]
; %bb.1684:
	v_bfe_u32 v1, v0, 20, 1
	s_mov_b32 s16, 0x407ffff
	v_add3_u32 v1, v0, v1, s16
	v_lshrrev_b32_e32 v5, 20, v1
	v_and_b32_e32 v1, 0xff00000, v1
	s_mov_b32 s16, 0x7f00000
	v_mov_b32_e32 v9, 0x7e
	v_cmp_ne_u32_e32 vcc, s16, v1
	v_cndmask_b32_e32 v1, v9, v5, vcc
; %bb.1685:
	s_andn2_saveexec_b64 s[12:13], s[12:13]
; %bb.1686:
	s_mov_b32 s16, 0x46800000
	v_add_f32_e64 v1, |v0|, s16
; %bb.1687:
	s_or_b64 exec, exec, s[12:13]
                                        ; implicit-def: $vgpr5
.LBB18_1688:
	s_andn2_saveexec_b64 s[10:11], s[10:11]
; %bb.1689:
	s_mov_b32 s12, 0x7f800000
	v_mov_b32_e32 v1, 0x7e
	v_mov_b32_e32 v9, 0x7f
	v_cmp_lt_u32_e32 vcc, s12, v5
	v_cndmask_b32_e32 v1, v1, v9, vcc
; %bb.1690:
	s_or_b64 exec, exec, s[10:11]
	v_lshrrev_b32_e32 v5, 24, v0
	s_movk_i32 s10, 0x80
	v_and_or_b32 v1, v5, s10, v1
	global_store_byte v[7:8], v1, off
.LBB18_1691:
	s_mov_b64 s[10:11], 0
.LBB18_1692:
	s_andn2_b64 vcc, exec, s[10:11]
	s_cbranch_vccnz .LBB18_1702
; %bb.1693:
	v_and_b32_e32 v5, 0x7fffffff, v0
	s_mov_b32 s10, 0x47800000
	v_cmp_gt_u32_e32 vcc, s10, v5
                                        ; implicit-def: $vgpr1
	s_and_saveexec_b64 s[10:11], vcc
	s_xor_b64 s[10:11], exec, s[10:11]
	s_cbranch_execz .LBB18_1699
; %bb.1694:
	s_mov_b32 s12, 0x387fffff
	v_cmp_lt_u32_e32 vcc, s12, v5
                                        ; implicit-def: $vgpr1
	s_and_saveexec_b64 s[12:13], vcc
	s_xor_b64 s[12:13], exec, s[12:13]
; %bb.1695:
	v_bfe_u32 v1, v0, 21, 1
	s_mov_b32 s16, 0x80fffff
	v_add3_u32 v1, v0, v1, s16
	v_lshrrev_b32_e32 v1, 21, v1
; %bb.1696:
	s_andn2_saveexec_b64 s[12:13], s[12:13]
; %bb.1697:
	s_mov_b32 s16, 0x43000000
	v_add_f32_e64 v1, |v0|, s16
; %bb.1698:
	s_or_b64 exec, exec, s[12:13]
                                        ; implicit-def: $vgpr5
.LBB18_1699:
	s_andn2_saveexec_b64 s[10:11], s[10:11]
; %bb.1700:
	s_mov_b32 s12, 0x7f800000
	v_mov_b32_e32 v1, 0x7c
	v_mov_b32_e32 v9, 0x7f
	v_cmp_lt_u32_e32 vcc, s12, v5
	v_cndmask_b32_e32 v1, v1, v9, vcc
; %bb.1701:
	s_or_b64 exec, exec, s[10:11]
	v_lshrrev_b32_e32 v5, 24, v0
	s_movk_i32 s10, 0x80
	v_and_or_b32 v1, v5, s10, v1
	global_store_byte v[7:8], v1, off
.LBB18_1702:
	s_mov_b64 s[10:11], 0
	s_mov_b64 s[12:13], -1
.LBB18_1703:
	s_andn2_b64 vcc, exec, s[10:11]
	s_mov_b64 s[10:11], 0
	s_cbranch_vccnz .LBB18_1710
; %bb.1704:
	s_cmp_gt_i32 s3, 14
	s_mov_b64 s[16:17], -1
	s_cbranch_scc0 .LBB18_1708
; %bb.1705:
	s_cmp_eq_u32 s3, 15
	s_mov_b64 s[0:1], -1
	s_cbranch_scc0 .LBB18_1707
; %bb.1706:
	v_bfe_u32 v1, v0, 16, 1
	s_movk_i32 s0, 0x7fff
	v_add3_u32 v1, v0, v1, s0
	v_cmp_o_f32_e32 vcc, v0, v0
	v_mov_b32_e32 v5, 0x7fc0
	v_cndmask_b32_sdwa v1, v5, v1, vcc dst_sel:DWORD dst_unused:UNUSED_PAD src0_sel:DWORD src1_sel:WORD_1
	global_store_short v[7:8], v1, off
	s_mov_b64 s[0:1], 0
	s_mov_b64 s[12:13], -1
.LBB18_1707:
	s_mov_b64 s[16:17], 0
.LBB18_1708:
	s_and_b64 vcc, exec, s[16:17]
	s_cbranch_vccz .LBB18_1710
; %bb.1709:
	s_cmp_lg_u32 s3, 11
	s_mov_b64 s[10:11], -1
	s_cselect_b64 s[0:1], -1, 0
.LBB18_1710:
	s_and_b64 vcc, exec, s[0:1]
	s_cbranch_vccnz .LBB18_2120
; %bb.1711:
	s_andn2_b64 vcc, exec, s[10:11]
	s_cbranch_vccnz .LBB18_1713
.LBB18_1712:
	v_cmp_neq_f32_e32 vcc, 0, v0
	v_cndmask_b32_e64 v1, 0, 1, vcc
	s_mov_b64 s[12:13], -1
	global_store_byte v[7:8], v1, off
.LBB18_1713:
	s_mov_b64 s[0:1], 0
	s_branch .LBB18_1761
.LBB18_1714:
	s_mov_b64 s[0:1], 0
                                        ; implicit-def: $sgpr20
                                        ; implicit-def: $vgpr0_vgpr1
                                        ; implicit-def: $vgpr6
.LBB18_1715:
	s_mov_b64 s[2:3], 0
.LBB18_1716:
	s_and_b64 s[12:13], s[2:3], exec
	s_andn2_b64 s[2:3], s[6:7], exec
	s_and_b64 s[6:7], s[14:15], exec
	s_and_b64 s[0:1], s[0:1], exec
	s_or_b64 s[6:7], s[2:3], s[6:7]
.LBB18_1717:
	s_or_b64 exec, exec, s[4:5]
	s_and_saveexec_b64 s[2:3], s[6:7]
	s_cbranch_execz .LBB18_1720
; %bb.1718:
	; divergent unreachable
	s_or_b64 exec, exec, s[2:3]
	s_and_saveexec_b64 s[2:3], s[12:13]
	s_xor_b64 s[2:3], exec, s[2:3]
	s_cbranch_execnz .LBB18_1721
.LBB18_1719:
	s_or_b64 exec, exec, s[2:3]
	s_and_saveexec_b64 s[2:3], s[0:1]
	s_cbranch_execnz .LBB18_1722
	s_branch .LBB18_1759
.LBB18_1720:
	s_or_b64 exec, exec, s[2:3]
	s_and_saveexec_b64 s[2:3], s[12:13]
	s_xor_b64 s[2:3], exec, s[2:3]
	s_cbranch_execz .LBB18_1719
.LBB18_1721:
	v_cmp_neq_f32_e32 vcc, 0, v6
	s_waitcnt vmcnt(0)
	v_cndmask_b32_e64 v2, 0, 1, vcc
	global_store_byte v[0:1], v2, off
	s_or_b64 exec, exec, s[2:3]
	s_and_saveexec_b64 s[2:3], s[0:1]
	s_cbranch_execz .LBB18_1759
.LBB18_1722:
	s_sext_i32_i16 s2, s20
	s_cmp_lt_i32 s2, 5
	s_mov_b64 s[0:1], -1
	s_cbranch_scc1 .LBB18_1743
; %bb.1723:
	s_cmp_lt_i32 s2, 8
	s_cbranch_scc1 .LBB18_1733
; %bb.1724:
	s_cmp_lt_i32 s2, 9
	s_cbranch_scc1 .LBB18_1730
; %bb.1725:
	s_cmp_gt_i32 s2, 9
	s_cbranch_scc0 .LBB18_1727
; %bb.1726:
	s_waitcnt vmcnt(0)
	v_cvt_f64_f32_e32 v[2:3], v6
	v_mov_b32_e32 v4, 0
	v_mov_b32_e32 v5, v4
	s_mov_b64 s[0:1], 0
	global_store_dwordx4 v[0:1], v[2:5], off
.LBB18_1727:
	s_andn2_b64 vcc, exec, s[0:1]
	s_cbranch_vccnz .LBB18_1729
; %bb.1728:
	v_mov_b32_e32 v7, 0
	s_waitcnt vmcnt(0)
	global_store_dwordx2 v[0:1], v[6:7], off
.LBB18_1729:
	s_mov_b64 s[0:1], 0
.LBB18_1730:
	s_andn2_b64 vcc, exec, s[0:1]
	s_cbranch_vccnz .LBB18_1732
; %bb.1731:
	s_waitcnt vmcnt(0)
	v_cvt_f16_f32_e32 v2, v6
	global_store_dword v[0:1], v2, off
.LBB18_1732:
	s_mov_b64 s[0:1], 0
.LBB18_1733:
	s_andn2_b64 vcc, exec, s[0:1]
	s_cbranch_vccnz .LBB18_1742
; %bb.1734:
	s_sext_i32_i16 s2, s20
	s_cmp_lt_i32 s2, 6
	s_mov_b64 s[0:1], -1
	s_cbranch_scc1 .LBB18_1740
; %bb.1735:
	s_cmp_gt_i32 s2, 6
	s_cbranch_scc0 .LBB18_1737
; %bb.1736:
	s_waitcnt vmcnt(0)
	v_cvt_f64_f32_e32 v[2:3], v6
	s_mov_b64 s[0:1], 0
	global_store_dwordx2 v[0:1], v[2:3], off
.LBB18_1737:
	s_andn2_b64 vcc, exec, s[0:1]
	s_cbranch_vccnz .LBB18_1739
; %bb.1738:
	s_waitcnt vmcnt(0)
	global_store_dword v[0:1], v6, off
.LBB18_1739:
	s_mov_b64 s[0:1], 0
.LBB18_1740:
	s_andn2_b64 vcc, exec, s[0:1]
	s_cbranch_vccnz .LBB18_1742
; %bb.1741:
	s_waitcnt vmcnt(0)
	v_cvt_f16_f32_e32 v2, v6
	global_store_short v[0:1], v2, off
.LBB18_1742:
	s_mov_b64 s[0:1], 0
.LBB18_1743:
	s_andn2_b64 vcc, exec, s[0:1]
	s_cbranch_vccnz .LBB18_1759
; %bb.1744:
	s_sext_i32_i16 s2, s20
	s_cmp_lt_i32 s2, 2
	s_mov_b64 s[0:1], -1
	s_cbranch_scc1 .LBB18_1754
; %bb.1745:
	s_cmp_lt_i32 s2, 3
	s_cbranch_scc1 .LBB18_1751
; %bb.1746:
	s_cmp_gt_i32 s2, 3
	s_cbranch_scc0 .LBB18_1748
; %bb.1747:
	s_waitcnt vmcnt(0)
	v_trunc_f32_e32 v2, v6
	s_mov_b32 s0, 0x2f800000
	v_mul_f32_e64 v3, |v2|, s0
	v_floor_f32_e32 v3, v3
	s_mov_b32 s0, 0xcf800000
	v_cvt_u32_f32_e32 v4, v3
	v_fma_f32 v3, v3, s0, |v2|
	v_cvt_u32_f32_e32 v3, v3
	v_ashrrev_i32_e32 v5, 31, v2
	v_xor_b32_e32 v4, v4, v5
	s_mov_b64 s[0:1], 0
	v_xor_b32_e32 v2, v3, v5
	v_sub_co_u32_e32 v2, vcc, v2, v5
	v_subb_co_u32_e32 v3, vcc, v4, v5, vcc
	global_store_dwordx2 v[0:1], v[2:3], off
.LBB18_1748:
	s_andn2_b64 vcc, exec, s[0:1]
	s_cbranch_vccnz .LBB18_1750
; %bb.1749:
	s_waitcnt vmcnt(0)
	v_cvt_i32_f32_e32 v2, v6
	global_store_dword v[0:1], v2, off
.LBB18_1750:
	s_mov_b64 s[0:1], 0
.LBB18_1751:
	s_andn2_b64 vcc, exec, s[0:1]
	s_cbranch_vccnz .LBB18_1753
; %bb.1752:
	s_waitcnt vmcnt(0)
	v_cvt_i32_f32_e32 v2, v6
	global_store_short v[0:1], v2, off
.LBB18_1753:
	s_mov_b64 s[0:1], 0
.LBB18_1754:
	s_andn2_b64 vcc, exec, s[0:1]
	s_cbranch_vccnz .LBB18_1759
; %bb.1755:
	s_sext_i32_i16 s0, s20
	s_cmp_gt_i32 s0, 0
	s_mov_b64 s[0:1], -1
	s_cbranch_scc0 .LBB18_1757
; %bb.1756:
	s_waitcnt vmcnt(0)
	v_cvt_i32_f32_e32 v2, v6
	s_mov_b64 s[0:1], 0
	global_store_byte v[0:1], v2, off
.LBB18_1757:
	s_andn2_b64 vcc, exec, s[0:1]
	s_cbranch_vccnz .LBB18_1759
; %bb.1758:
	s_waitcnt vmcnt(0)
	v_trunc_f32_e32 v2, v6
	s_mov_b32 s0, 0x2f800000
	v_mul_f32_e64 v3, |v2|, s0
	v_floor_f32_e32 v3, v3
	s_mov_b32 s0, 0xcf800000
	v_fma_f32 v3, v3, s0, |v2|
	v_cvt_u32_f32_e32 v3, v3
	v_ashrrev_i32_e32 v2, 31, v2
	v_xor_b32_e32 v3, v3, v2
	v_sub_u32_e32 v2, v3, v2
	global_store_byte v[0:1], v2, off
	s_endpgm
.LBB18_1759:
	s_endpgm
.LBB18_1760:
	s_mov_b64 s[0:1], -1
	s_mov_b64 s[12:13], 0
.LBB18_1761:
	s_and_b64 vcc, exec, s[0:1]
	s_cbranch_vccz .LBB18_1800
; %bb.1762:
	s_and_b32 s3, 0xffff, s20
	s_cmp_lt_i32 s3, 5
	s_mov_b64 s[0:1], -1
	s_cbranch_scc1 .LBB18_1783
; %bb.1763:
	s_cmp_lt_i32 s3, 8
	s_cbranch_scc1 .LBB18_1773
; %bb.1764:
	s_cmp_lt_i32 s3, 9
	s_cbranch_scc1 .LBB18_1770
; %bb.1765:
	s_cmp_gt_i32 s3, 9
	s_cbranch_scc0 .LBB18_1767
; %bb.1766:
	v_cvt_f64_f32_e32 v[9:10], v0
	v_mov_b32_e32 v11, 0
	v_mov_b32_e32 v12, v11
	s_mov_b64 s[0:1], 0
	global_store_dwordx4 v[7:8], v[9:12], off
.LBB18_1767:
	s_andn2_b64 vcc, exec, s[0:1]
	s_cbranch_vccnz .LBB18_1769
; %bb.1768:
	v_mov_b32_e32 v1, 0
	global_store_dwordx2 v[7:8], v[0:1], off
.LBB18_1769:
	s_mov_b64 s[0:1], 0
.LBB18_1770:
	s_andn2_b64 vcc, exec, s[0:1]
	s_cbranch_vccnz .LBB18_1772
; %bb.1771:
	v_cvt_f16_f32_e32 v1, v0
	global_store_dword v[7:8], v1, off
.LBB18_1772:
	s_mov_b64 s[0:1], 0
.LBB18_1773:
	s_andn2_b64 vcc, exec, s[0:1]
	s_cbranch_vccnz .LBB18_1782
; %bb.1774:
	s_cmp_lt_i32 s3, 6
	s_mov_b64 s[0:1], -1
	s_cbranch_scc1 .LBB18_1780
; %bb.1775:
	s_cmp_gt_i32 s3, 6
	s_cbranch_scc0 .LBB18_1777
; %bb.1776:
	v_cvt_f64_f32_e32 v[9:10], v0
	s_mov_b64 s[0:1], 0
	global_store_dwordx2 v[7:8], v[9:10], off
.LBB18_1777:
	s_andn2_b64 vcc, exec, s[0:1]
	s_cbranch_vccnz .LBB18_1779
; %bb.1778:
	global_store_dword v[7:8], v0, off
.LBB18_1779:
	s_mov_b64 s[0:1], 0
.LBB18_1780:
	s_andn2_b64 vcc, exec, s[0:1]
	s_cbranch_vccnz .LBB18_1782
; %bb.1781:
	v_cvt_f16_f32_e32 v1, v0
	global_store_short v[7:8], v1, off
.LBB18_1782:
	s_mov_b64 s[0:1], 0
.LBB18_1783:
	s_andn2_b64 vcc, exec, s[0:1]
	s_cbranch_vccnz .LBB18_1799
; %bb.1784:
	s_cmp_lt_i32 s3, 2
	s_mov_b64 s[0:1], -1
	s_cbranch_scc1 .LBB18_1794
; %bb.1785:
	s_cmp_lt_i32 s3, 3
	s_cbranch_scc1 .LBB18_1791
; %bb.1786:
	s_cmp_gt_i32 s3, 3
	s_cbranch_scc0 .LBB18_1788
; %bb.1787:
	v_trunc_f32_e32 v1, v0
	s_mov_b32 s0, 0x2f800000
	v_mul_f32_e64 v5, |v1|, s0
	v_floor_f32_e32 v5, v5
	s_mov_b32 s0, 0xcf800000
	v_cvt_u32_f32_e32 v9, v5
	v_fma_f32 v5, v5, s0, |v1|
	v_cvt_u32_f32_e32 v5, v5
	v_ashrrev_i32_e32 v1, 31, v1
	v_xor_b32_e32 v10, v9, v1
	s_mov_b64 s[0:1], 0
	v_xor_b32_e32 v5, v5, v1
	v_sub_co_u32_e32 v9, vcc, v5, v1
	v_subb_co_u32_e32 v10, vcc, v10, v1, vcc
	global_store_dwordx2 v[7:8], v[9:10], off
.LBB18_1788:
	s_andn2_b64 vcc, exec, s[0:1]
	s_cbranch_vccnz .LBB18_1790
; %bb.1789:
	v_cvt_i32_f32_e32 v1, v0
	global_store_dword v[7:8], v1, off
.LBB18_1790:
	s_mov_b64 s[0:1], 0
.LBB18_1791:
	s_andn2_b64 vcc, exec, s[0:1]
	s_cbranch_vccnz .LBB18_1793
; %bb.1792:
	v_cvt_i32_f32_e32 v1, v0
	global_store_short v[7:8], v1, off
.LBB18_1793:
	s_mov_b64 s[0:1], 0
.LBB18_1794:
	s_andn2_b64 vcc, exec, s[0:1]
	s_cbranch_vccnz .LBB18_1799
; %bb.1795:
	s_cmp_gt_i32 s3, 0
	s_mov_b64 s[0:1], -1
	s_cbranch_scc0 .LBB18_1797
; %bb.1796:
	v_cvt_i32_f32_e32 v1, v0
	s_mov_b64 s[0:1], 0
	global_store_byte v[7:8], v1, off
.LBB18_1797:
	s_andn2_b64 vcc, exec, s[0:1]
	s_cbranch_vccnz .LBB18_1799
; %bb.1798:
	v_trunc_f32_e32 v0, v0
	s_mov_b32 s0, 0x2f800000
	v_mul_f32_e64 v1, |v0|, s0
	v_floor_f32_e32 v1, v1
	s_mov_b32 s0, 0xcf800000
	v_fma_f32 v1, v1, s0, |v0|
	v_cvt_u32_f32_e32 v1, v1
	v_ashrrev_i32_e32 v0, 31, v0
	v_xor_b32_e32 v1, v1, v0
	v_sub_u32_e32 v0, v1, v0
	global_store_byte v[7:8], v0, off
.LBB18_1799:
	s_mov_b64 s[12:13], -1
.LBB18_1800:
	s_andn2_b64 vcc, exec, s[12:13]
	s_cbranch_vccnz .LBB18_2115
; %bb.1801:
	s_lshl_b32 s18, s2, 7
	v_add_u32_e32 v5, s18, v3
	v_ashrrev_i32_e32 v1, 31, v5
	v_mov_b32_e32 v3, s9
	v_add_co_u32_e32 v0, vcc, s8, v5
	s_cmp_lt_i32 s20, 11
	v_addc_co_u32_e32 v1, vcc, v3, v1, vcc
	s_cbranch_scc1 .LBB18_1879
; %bb.1802:
	s_and_b32 s19, 0xffff, s20
	s_mov_b64 s[12:13], -1
	s_mov_b64 s[2:3], 0
	s_cmp_gt_i32 s19, 25
	s_mov_b64 s[10:11], 0
	s_mov_b64 s[0:1], 0
	s_cbranch_scc0 .LBB18_1835
; %bb.1803:
	s_cmp_gt_i32 s19, 28
	s_cbranch_scc0 .LBB18_1818
; %bb.1804:
	s_cmp_gt_i32 s19, 43
	;; [unrolled: 3-line block ×3, first 2 shown]
	s_cbranch_scc0 .LBB18_1808
; %bb.1806:
	s_mov_b64 s[0:1], -1
	s_mov_b64 s[12:13], 0
	s_cmp_eq_u32 s19, 46
	s_cbranch_scc0 .LBB18_1808
; %bb.1807:
	v_bfe_u32 v3, v2, 16, 1
	s_movk_i32 s0, 0x7fff
	v_add3_u32 v3, v2, v3, s0
	v_cmp_o_f32_e32 vcc, v2, v2
	v_mov_b32_e32 v7, 0x7fc0
	v_cndmask_b32_sdwa v3, v7, v3, vcc dst_sel:DWORD dst_unused:UNUSED_PAD src0_sel:DWORD src1_sel:WORD_1
	global_store_dword v[0:1], v3, off
	s_mov_b64 s[0:1], 0
	s_mov_b64 s[10:11], -1
.LBB18_1808:
	s_and_b64 vcc, exec, s[12:13]
	s_cbranch_vccz .LBB18_1813
; %bb.1809:
	s_cmp_eq_u32 s19, 44
	s_mov_b64 s[0:1], -1
	s_cbranch_scc0 .LBB18_1813
; %bb.1810:
	v_bfe_u32 v3, v2, 23, 8
	s_movk_i32 s0, 0xff
	v_cmp_ne_u32_e32 vcc, s0, v3
	v_mov_b32_e32 v7, 0xff
	s_and_saveexec_b64 s[10:11], vcc
; %bb.1811:
	s_mov_b32 s0, 0x3fffff
	v_and_b32_e32 v8, 0x400000, v2
	v_and_or_b32 v3, v2, s0, v3
	v_cmp_ne_u32_e32 vcc, 0, v8
	v_cmp_ne_u32_e64 s[0:1], 0, v3
	s_and_b64 s[0:1], vcc, s[0:1]
	v_lshrrev_b32_e32 v7, 23, v2
	v_cndmask_b32_e64 v3, 0, 1, s[0:1]
	v_add_u32_e32 v7, v7, v3
; %bb.1812:
	s_or_b64 exec, exec, s[10:11]
	s_mov_b64 s[0:1], 0
	s_mov_b64 s[10:11], -1
	global_store_byte v[0:1], v7, off
.LBB18_1813:
	s_mov_b64 s[12:13], 0
.LBB18_1814:
	s_and_b64 vcc, exec, s[12:13]
	s_cbranch_vccz .LBB18_1817
; %bb.1815:
	s_cmp_eq_u32 s19, 29
	s_mov_b64 s[0:1], -1
	s_cbranch_scc0 .LBB18_1817
; %bb.1816:
	v_trunc_f32_e32 v3, v2
	v_mul_f32_e32 v7, 0x2f800000, v3
	v_floor_f32_e32 v7, v7
	v_fmac_f32_e32 v3, 0xcf800000, v7
	v_cvt_u32_f32_e32 v8, v7
	v_cvt_u32_f32_e32 v7, v3
	s_mov_b64 s[0:1], 0
	s_mov_b64 s[10:11], -1
	global_store_dwordx2 v[0:1], v[7:8], off
.LBB18_1817:
	s_mov_b64 s[12:13], 0
.LBB18_1818:
	s_and_b64 vcc, exec, s[12:13]
	s_cbranch_vccz .LBB18_1834
; %bb.1819:
	s_cmp_lt_i32 s19, 27
	s_mov_b64 s[10:11], -1
	s_cbranch_scc1 .LBB18_1825
; %bb.1820:
	v_cvt_u32_f32_e32 v3, v2
	s_cmp_gt_i32 s19, 27
	s_cbranch_scc0 .LBB18_1822
; %bb.1821:
	s_mov_b64 s[10:11], 0
	global_store_dword v[0:1], v3, off
.LBB18_1822:
	s_andn2_b64 vcc, exec, s[10:11]
	s_cbranch_vccnz .LBB18_1824
; %bb.1823:
	global_store_short v[0:1], v3, off
.LBB18_1824:
	s_mov_b64 s[10:11], 0
.LBB18_1825:
	s_andn2_b64 vcc, exec, s[10:11]
	s_cbranch_vccnz .LBB18_1833
; %bb.1826:
	v_and_b32_e32 v3, 0x7fffffff, v2
	s_mov_b32 s10, 0x43800000
	v_cmp_gt_u32_e32 vcc, s10, v3
	v_mov_b32_e32 v7, 0x80
	s_and_saveexec_b64 s[10:11], vcc
	s_cbranch_execz .LBB18_1832
; %bb.1827:
	s_mov_b32 s12, 0x3bffffff
	v_cmp_lt_u32_e32 vcc, s12, v3
	s_mov_b64 s[12:13], 0
                                        ; implicit-def: $vgpr3
	s_and_saveexec_b64 s[16:17], vcc
	s_xor_b64 s[16:17], exec, s[16:17]
	s_cbranch_execz .LBB18_2123
; %bb.1828:
	v_bfe_u32 v3, v2, 20, 1
	s_mov_b32 s21, 0x487ffff
	v_add3_u32 v3, v2, v3, s21
	s_mov_b64 s[12:13], exec
	v_lshrrev_b32_e32 v3, 20, v3
	s_andn2_saveexec_b64 s[16:17], s[16:17]
	s_cbranch_execnz .LBB18_2124
.LBB18_1829:
	s_or_b64 exec, exec, s[16:17]
	v_mov_b32_e32 v7, 0
	s_and_saveexec_b64 s[16:17], s[12:13]
.LBB18_1830:
	v_lshrrev_b32_e32 v7, 24, v2
	s_movk_i32 s12, 0x80
	v_and_or_b32 v7, v7, s12, v3
.LBB18_1831:
	s_or_b64 exec, exec, s[16:17]
.LBB18_1832:
	s_or_b64 exec, exec, s[10:11]
	global_store_byte v[0:1], v7, off
.LBB18_1833:
	s_mov_b64 s[10:11], -1
.LBB18_1834:
	s_mov_b64 s[12:13], 0
.LBB18_1835:
	s_and_b64 vcc, exec, s[12:13]
	s_cbranch_vccz .LBB18_1875
; %bb.1836:
	s_cmp_gt_i32 s19, 22
	s_mov_b64 s[2:3], -1
	s_cbranch_scc0 .LBB18_1868
; %bb.1837:
	s_cmp_lt_i32 s19, 24
	s_cbranch_scc1 .LBB18_1857
; %bb.1838:
	s_cmp_gt_i32 s19, 24
	s_cbranch_scc0 .LBB18_1846
; %bb.1839:
	v_and_b32_e32 v3, 0x7fffffff, v2
	s_mov_b32 s2, 0x47800000
	v_cmp_gt_u32_e32 vcc, s2, v3
	v_mov_b32_e32 v7, 0x80
	s_and_saveexec_b64 s[2:3], vcc
	s_cbranch_execz .LBB18_1845
; %bb.1840:
	s_mov_b32 s10, 0x37ffffff
	v_cmp_lt_u32_e32 vcc, s10, v3
	s_mov_b64 s[10:11], 0
                                        ; implicit-def: $vgpr3
	s_and_saveexec_b64 s[12:13], vcc
	s_xor_b64 s[12:13], exec, s[12:13]
	s_cbranch_execz .LBB18_2126
; %bb.1841:
	v_bfe_u32 v3, v2, 21, 1
	s_mov_b32 s16, 0x88fffff
	v_add3_u32 v3, v2, v3, s16
	s_mov_b64 s[10:11], exec
	v_lshrrev_b32_e32 v3, 21, v3
	s_andn2_saveexec_b64 s[12:13], s[12:13]
	s_cbranch_execnz .LBB18_2127
.LBB18_1842:
	s_or_b64 exec, exec, s[12:13]
	v_mov_b32_e32 v7, 0
	s_and_saveexec_b64 s[12:13], s[10:11]
.LBB18_1843:
	v_lshrrev_b32_e32 v7, 24, v2
	s_movk_i32 s10, 0x80
	v_and_or_b32 v7, v7, s10, v3
.LBB18_1844:
	s_or_b64 exec, exec, s[12:13]
.LBB18_1845:
	s_or_b64 exec, exec, s[2:3]
	s_mov_b64 s[2:3], 0
	global_store_byte v[0:1], v7, off
.LBB18_1846:
	s_and_b64 vcc, exec, s[2:3]
	s_cbranch_vccz .LBB18_1856
; %bb.1847:
	v_and_b32_e32 v7, 0x7fffffff, v2
	s_mov_b32 s2, 0x43f00000
	v_cmp_gt_u32_e32 vcc, s2, v7
                                        ; implicit-def: $vgpr3
	s_and_saveexec_b64 s[2:3], vcc
	s_xor_b64 s[2:3], exec, s[2:3]
	s_cbranch_execz .LBB18_1853
; %bb.1848:
	s_mov_b32 s10, 0x3c7fffff
	v_cmp_lt_u32_e32 vcc, s10, v7
                                        ; implicit-def: $vgpr3
	s_and_saveexec_b64 s[10:11], vcc
	s_xor_b64 s[10:11], exec, s[10:11]
; %bb.1849:
	v_bfe_u32 v3, v2, 20, 1
	s_mov_b32 s12, 0x407ffff
	v_add3_u32 v3, v2, v3, s12
	v_lshrrev_b32_e32 v7, 20, v3
	v_and_b32_e32 v3, 0xff00000, v3
	s_mov_b32 s12, 0x7f00000
	v_mov_b32_e32 v8, 0x7e
	v_cmp_ne_u32_e32 vcc, s12, v3
	v_cndmask_b32_e32 v3, v8, v7, vcc
; %bb.1850:
	s_andn2_saveexec_b64 s[10:11], s[10:11]
; %bb.1851:
	s_mov_b32 s12, 0x46800000
	v_add_f32_e64 v3, |v2|, s12
; %bb.1852:
	s_or_b64 exec, exec, s[10:11]
                                        ; implicit-def: $vgpr7
.LBB18_1853:
	s_andn2_saveexec_b64 s[2:3], s[2:3]
; %bb.1854:
	s_mov_b32 s10, 0x7f800000
	v_mov_b32_e32 v3, 0x7e
	v_mov_b32_e32 v8, 0x7f
	v_cmp_lt_u32_e32 vcc, s10, v7
	v_cndmask_b32_e32 v3, v3, v8, vcc
; %bb.1855:
	s_or_b64 exec, exec, s[2:3]
	v_lshrrev_b32_e32 v7, 24, v2
	s_movk_i32 s2, 0x80
	v_and_or_b32 v3, v7, s2, v3
	global_store_byte v[0:1], v3, off
.LBB18_1856:
	s_mov_b64 s[2:3], 0
.LBB18_1857:
	s_andn2_b64 vcc, exec, s[2:3]
	s_cbranch_vccnz .LBB18_1867
; %bb.1858:
	v_and_b32_e32 v7, 0x7fffffff, v2
	s_mov_b32 s2, 0x47800000
	v_cmp_gt_u32_e32 vcc, s2, v7
                                        ; implicit-def: $vgpr3
	s_and_saveexec_b64 s[2:3], vcc
	s_xor_b64 s[2:3], exec, s[2:3]
	s_cbranch_execz .LBB18_1864
; %bb.1859:
	s_mov_b32 s10, 0x387fffff
	v_cmp_lt_u32_e32 vcc, s10, v7
                                        ; implicit-def: $vgpr3
	s_and_saveexec_b64 s[10:11], vcc
	s_xor_b64 s[10:11], exec, s[10:11]
; %bb.1860:
	v_bfe_u32 v3, v2, 21, 1
	s_mov_b32 s12, 0x80fffff
	v_add3_u32 v3, v2, v3, s12
	v_lshrrev_b32_e32 v3, 21, v3
; %bb.1861:
	s_andn2_saveexec_b64 s[10:11], s[10:11]
; %bb.1862:
	s_mov_b32 s12, 0x43000000
	v_add_f32_e64 v3, |v2|, s12
; %bb.1863:
	s_or_b64 exec, exec, s[10:11]
                                        ; implicit-def: $vgpr7
.LBB18_1864:
	s_andn2_saveexec_b64 s[2:3], s[2:3]
; %bb.1865:
	s_mov_b32 s10, 0x7f800000
	v_mov_b32_e32 v3, 0x7c
	v_mov_b32_e32 v8, 0x7f
	v_cmp_lt_u32_e32 vcc, s10, v7
	v_cndmask_b32_e32 v3, v3, v8, vcc
; %bb.1866:
	s_or_b64 exec, exec, s[2:3]
	v_lshrrev_b32_e32 v7, 24, v2
	s_movk_i32 s2, 0x80
	v_and_or_b32 v3, v7, s2, v3
	global_store_byte v[0:1], v3, off
.LBB18_1867:
	s_mov_b64 s[2:3], 0
	s_mov_b64 s[10:11], -1
.LBB18_1868:
	s_andn2_b64 vcc, exec, s[2:3]
	s_mov_b64 s[2:3], 0
	s_cbranch_vccnz .LBB18_1875
; %bb.1869:
	s_cmp_gt_i32 s19, 14
	s_mov_b64 s[12:13], -1
	s_cbranch_scc0 .LBB18_1873
; %bb.1870:
	s_cmp_eq_u32 s19, 15
	s_mov_b64 s[0:1], -1
	s_cbranch_scc0 .LBB18_1872
; %bb.1871:
	v_bfe_u32 v3, v2, 16, 1
	s_movk_i32 s0, 0x7fff
	v_add3_u32 v3, v2, v3, s0
	v_cmp_o_f32_e32 vcc, v2, v2
	v_mov_b32_e32 v7, 0x7fc0
	v_cndmask_b32_sdwa v3, v7, v3, vcc dst_sel:DWORD dst_unused:UNUSED_PAD src0_sel:DWORD src1_sel:WORD_1
	global_store_short v[0:1], v3, off
	s_mov_b64 s[0:1], 0
	s_mov_b64 s[10:11], -1
.LBB18_1872:
	s_mov_b64 s[12:13], 0
.LBB18_1873:
	s_and_b64 vcc, exec, s[12:13]
	s_cbranch_vccz .LBB18_1875
; %bb.1874:
	s_cmp_lg_u32 s19, 11
	s_mov_b64 s[2:3], -1
	s_cselect_b64 s[0:1], -1, 0
.LBB18_1875:
	s_and_b64 vcc, exec, s[0:1]
	s_cbranch_vccnz .LBB18_2125
; %bb.1876:
	s_andn2_b64 vcc, exec, s[2:3]
	s_cbranch_vccnz .LBB18_1878
.LBB18_1877:
	v_cmp_neq_f32_e32 vcc, 0, v2
	v_cndmask_b32_e64 v3, 0, 1, vcc
	s_mov_b64 s[10:11], -1
	global_store_byte v[0:1], v3, off
.LBB18_1878:
	s_mov_b64 s[0:1], 0
	s_branch .LBB18_1880
.LBB18_1879:
	s_mov_b64 s[0:1], -1
	s_mov_b64 s[10:11], 0
.LBB18_1880:
	s_and_b64 vcc, exec, s[0:1]
	s_cbranch_vccz .LBB18_1919
; %bb.1881:
	s_and_b32 s2, 0xffff, s20
	s_cmp_lt_i32 s2, 5
	s_mov_b64 s[0:1], -1
	s_cbranch_scc1 .LBB18_1902
; %bb.1882:
	s_cmp_lt_i32 s2, 8
	s_cbranch_scc1 .LBB18_1892
; %bb.1883:
	s_cmp_lt_i32 s2, 9
	s_cbranch_scc1 .LBB18_1889
; %bb.1884:
	s_cmp_gt_i32 s2, 9
	s_cbranch_scc0 .LBB18_1886
; %bb.1885:
	v_cvt_f64_f32_e32 v[7:8], v2
	v_mov_b32_e32 v9, 0
	v_mov_b32_e32 v10, v9
	s_mov_b64 s[0:1], 0
	global_store_dwordx4 v[0:1], v[7:10], off
.LBB18_1886:
	s_andn2_b64 vcc, exec, s[0:1]
	s_cbranch_vccnz .LBB18_1888
; %bb.1887:
	v_mov_b32_e32 v3, 0
	global_store_dwordx2 v[0:1], v[2:3], off
.LBB18_1888:
	s_mov_b64 s[0:1], 0
.LBB18_1889:
	s_andn2_b64 vcc, exec, s[0:1]
	s_cbranch_vccnz .LBB18_1891
; %bb.1890:
	v_cvt_f16_f32_e32 v3, v2
	global_store_dword v[0:1], v3, off
.LBB18_1891:
	s_mov_b64 s[0:1], 0
.LBB18_1892:
	s_andn2_b64 vcc, exec, s[0:1]
	s_cbranch_vccnz .LBB18_1901
; %bb.1893:
	s_cmp_lt_i32 s2, 6
	s_mov_b64 s[0:1], -1
	s_cbranch_scc1 .LBB18_1899
; %bb.1894:
	s_cmp_gt_i32 s2, 6
	s_cbranch_scc0 .LBB18_1896
; %bb.1895:
	v_cvt_f64_f32_e32 v[7:8], v2
	s_mov_b64 s[0:1], 0
	global_store_dwordx2 v[0:1], v[7:8], off
.LBB18_1896:
	s_andn2_b64 vcc, exec, s[0:1]
	s_cbranch_vccnz .LBB18_1898
; %bb.1897:
	global_store_dword v[0:1], v2, off
.LBB18_1898:
	s_mov_b64 s[0:1], 0
.LBB18_1899:
	s_andn2_b64 vcc, exec, s[0:1]
	s_cbranch_vccnz .LBB18_1901
; %bb.1900:
	v_cvt_f16_f32_e32 v3, v2
	global_store_short v[0:1], v3, off
.LBB18_1901:
	s_mov_b64 s[0:1], 0
.LBB18_1902:
	s_andn2_b64 vcc, exec, s[0:1]
	s_cbranch_vccnz .LBB18_1918
; %bb.1903:
	s_cmp_lt_i32 s2, 2
	s_mov_b64 s[0:1], -1
	s_cbranch_scc1 .LBB18_1913
; %bb.1904:
	s_cmp_lt_i32 s2, 3
	s_cbranch_scc1 .LBB18_1910
; %bb.1905:
	s_cmp_gt_i32 s2, 3
	s_cbranch_scc0 .LBB18_1907
; %bb.1906:
	v_trunc_f32_e32 v3, v2
	s_mov_b32 s0, 0x2f800000
	v_mul_f32_e64 v7, |v3|, s0
	v_floor_f32_e32 v7, v7
	s_mov_b32 s0, 0xcf800000
	v_cvt_u32_f32_e32 v8, v7
	v_fma_f32 v7, v7, s0, |v3|
	v_cvt_u32_f32_e32 v7, v7
	v_ashrrev_i32_e32 v3, 31, v3
	v_xor_b32_e32 v8, v8, v3
	s_mov_b64 s[0:1], 0
	v_xor_b32_e32 v7, v7, v3
	v_sub_co_u32_e32 v7, vcc, v7, v3
	v_subb_co_u32_e32 v8, vcc, v8, v3, vcc
	global_store_dwordx2 v[0:1], v[7:8], off
.LBB18_1907:
	s_andn2_b64 vcc, exec, s[0:1]
	s_cbranch_vccnz .LBB18_1909
; %bb.1908:
	v_cvt_i32_f32_e32 v3, v2
	global_store_dword v[0:1], v3, off
.LBB18_1909:
	s_mov_b64 s[0:1], 0
.LBB18_1910:
	s_andn2_b64 vcc, exec, s[0:1]
	s_cbranch_vccnz .LBB18_1912
; %bb.1911:
	v_cvt_i32_f32_e32 v3, v2
	global_store_short v[0:1], v3, off
.LBB18_1912:
	s_mov_b64 s[0:1], 0
.LBB18_1913:
	s_andn2_b64 vcc, exec, s[0:1]
	s_cbranch_vccnz .LBB18_1918
; %bb.1914:
	s_cmp_gt_i32 s2, 0
	s_mov_b64 s[0:1], -1
	s_cbranch_scc0 .LBB18_1916
; %bb.1915:
	v_cvt_i32_f32_e32 v3, v2
	s_mov_b64 s[0:1], 0
	global_store_byte v[0:1], v3, off
.LBB18_1916:
	s_andn2_b64 vcc, exec, s[0:1]
	s_cbranch_vccnz .LBB18_1918
; %bb.1917:
	v_trunc_f32_e32 v2, v2
	s_mov_b32 s0, 0x2f800000
	v_mul_f32_e64 v3, |v2|, s0
	v_floor_f32_e32 v3, v3
	s_mov_b32 s0, 0xcf800000
	v_fma_f32 v3, v3, s0, |v2|
	v_cvt_u32_f32_e32 v3, v3
	v_ashrrev_i32_e32 v2, 31, v2
	v_xor_b32_e32 v3, v3, v2
	v_sub_u32_e32 v2, v3, v2
	global_store_byte v[0:1], v2, off
.LBB18_1918:
	s_mov_b64 s[10:11], -1
.LBB18_1919:
	s_andn2_b64 vcc, exec, s[10:11]
	s_cbranch_vccnz .LBB18_2115
; %bb.1920:
	v_add_u32_e32 v2, s18, v5
	v_ashrrev_i32_e32 v1, 31, v2
	v_mov_b32_e32 v3, s9
	v_add_co_u32_e32 v0, vcc, s8, v2
	s_cmp_lt_i32 s20, 11
	v_addc_co_u32_e32 v1, vcc, v3, v1, vcc
	s_cbranch_scc1 .LBB18_1998
; %bb.1921:
	s_and_b32 s19, 0xffff, s20
	s_mov_b64 s[12:13], -1
	s_mov_b64 s[2:3], 0
	s_cmp_gt_i32 s19, 25
	s_mov_b64 s[10:11], 0
	s_mov_b64 s[0:1], 0
	s_cbranch_scc0 .LBB18_1954
; %bb.1922:
	s_cmp_gt_i32 s19, 28
	s_cbranch_scc0 .LBB18_1937
; %bb.1923:
	s_cmp_gt_i32 s19, 43
	;; [unrolled: 3-line block ×3, first 2 shown]
	s_cbranch_scc0 .LBB18_1927
; %bb.1925:
	s_mov_b64 s[0:1], -1
	s_mov_b64 s[12:13], 0
	s_cmp_eq_u32 s19, 46
	s_cbranch_scc0 .LBB18_1927
; %bb.1926:
	v_bfe_u32 v3, v4, 16, 1
	s_movk_i32 s0, 0x7fff
	v_add3_u32 v3, v4, v3, s0
	v_cmp_o_f32_e32 vcc, v4, v4
	v_mov_b32_e32 v5, 0x7fc0
	v_cndmask_b32_sdwa v3, v5, v3, vcc dst_sel:DWORD dst_unused:UNUSED_PAD src0_sel:DWORD src1_sel:WORD_1
	global_store_dword v[0:1], v3, off
	s_mov_b64 s[0:1], 0
	s_mov_b64 s[10:11], -1
.LBB18_1927:
	s_and_b64 vcc, exec, s[12:13]
	s_cbranch_vccz .LBB18_1932
; %bb.1928:
	s_cmp_eq_u32 s19, 44
	s_mov_b64 s[0:1], -1
	s_cbranch_scc0 .LBB18_1932
; %bb.1929:
	v_bfe_u32 v3, v4, 23, 8
	s_movk_i32 s0, 0xff
	v_cmp_ne_u32_e32 vcc, s0, v3
	v_mov_b32_e32 v5, 0xff
	s_and_saveexec_b64 s[10:11], vcc
; %bb.1930:
	s_mov_b32 s0, 0x3fffff
	v_and_b32_e32 v7, 0x400000, v4
	v_and_or_b32 v3, v4, s0, v3
	v_cmp_ne_u32_e32 vcc, 0, v7
	v_cmp_ne_u32_e64 s[0:1], 0, v3
	s_and_b64 s[0:1], vcc, s[0:1]
	v_lshrrev_b32_e32 v5, 23, v4
	v_cndmask_b32_e64 v3, 0, 1, s[0:1]
	v_add_u32_e32 v5, v5, v3
; %bb.1931:
	s_or_b64 exec, exec, s[10:11]
	s_mov_b64 s[0:1], 0
	s_mov_b64 s[10:11], -1
	global_store_byte v[0:1], v5, off
.LBB18_1932:
	s_mov_b64 s[12:13], 0
.LBB18_1933:
	s_and_b64 vcc, exec, s[12:13]
	s_cbranch_vccz .LBB18_1936
; %bb.1934:
	s_cmp_eq_u32 s19, 29
	s_mov_b64 s[0:1], -1
	s_cbranch_scc0 .LBB18_1936
; %bb.1935:
	v_trunc_f32_e32 v3, v4
	v_mul_f32_e32 v5, 0x2f800000, v3
	v_floor_f32_e32 v5, v5
	v_fmac_f32_e32 v3, 0xcf800000, v5
	v_cvt_u32_f32_e32 v8, v5
	v_cvt_u32_f32_e32 v7, v3
	s_mov_b64 s[0:1], 0
	s_mov_b64 s[10:11], -1
	global_store_dwordx2 v[0:1], v[7:8], off
.LBB18_1936:
	s_mov_b64 s[12:13], 0
.LBB18_1937:
	s_and_b64 vcc, exec, s[12:13]
	s_cbranch_vccz .LBB18_1953
; %bb.1938:
	s_cmp_lt_i32 s19, 27
	s_mov_b64 s[10:11], -1
	s_cbranch_scc1 .LBB18_1944
; %bb.1939:
	v_cvt_u32_f32_e32 v3, v4
	s_cmp_gt_i32 s19, 27
	s_cbranch_scc0 .LBB18_1941
; %bb.1940:
	s_mov_b64 s[10:11], 0
	global_store_dword v[0:1], v3, off
.LBB18_1941:
	s_andn2_b64 vcc, exec, s[10:11]
	s_cbranch_vccnz .LBB18_1943
; %bb.1942:
	global_store_short v[0:1], v3, off
.LBB18_1943:
	s_mov_b64 s[10:11], 0
.LBB18_1944:
	s_andn2_b64 vcc, exec, s[10:11]
	s_cbranch_vccnz .LBB18_1952
; %bb.1945:
	v_and_b32_e32 v3, 0x7fffffff, v4
	s_mov_b32 s10, 0x43800000
	v_cmp_gt_u32_e32 vcc, s10, v3
	v_mov_b32_e32 v5, 0x80
	s_and_saveexec_b64 s[10:11], vcc
	s_cbranch_execz .LBB18_1951
; %bb.1946:
	s_mov_b32 s12, 0x3bffffff
	v_cmp_lt_u32_e32 vcc, s12, v3
	s_mov_b64 s[12:13], 0
                                        ; implicit-def: $vgpr3
	s_and_saveexec_b64 s[16:17], vcc
	s_xor_b64 s[16:17], exec, s[16:17]
	s_cbranch_execz .LBB18_2128
; %bb.1947:
	v_bfe_u32 v3, v4, 20, 1
	s_mov_b32 s21, 0x487ffff
	v_add3_u32 v3, v4, v3, s21
	s_mov_b64 s[12:13], exec
	v_lshrrev_b32_e32 v3, 20, v3
	s_andn2_saveexec_b64 s[16:17], s[16:17]
	s_cbranch_execnz .LBB18_2129
.LBB18_1948:
	s_or_b64 exec, exec, s[16:17]
	v_mov_b32_e32 v5, 0
	s_and_saveexec_b64 s[16:17], s[12:13]
.LBB18_1949:
	v_lshrrev_b32_e32 v5, 24, v4
	s_movk_i32 s12, 0x80
	v_and_or_b32 v5, v5, s12, v3
.LBB18_1950:
	s_or_b64 exec, exec, s[16:17]
.LBB18_1951:
	s_or_b64 exec, exec, s[10:11]
	global_store_byte v[0:1], v5, off
.LBB18_1952:
	s_mov_b64 s[10:11], -1
.LBB18_1953:
	s_mov_b64 s[12:13], 0
.LBB18_1954:
	s_and_b64 vcc, exec, s[12:13]
	s_cbranch_vccz .LBB18_1994
; %bb.1955:
	s_cmp_gt_i32 s19, 22
	s_mov_b64 s[2:3], -1
	s_cbranch_scc0 .LBB18_1987
; %bb.1956:
	s_cmp_lt_i32 s19, 24
	s_cbranch_scc1 .LBB18_1976
; %bb.1957:
	s_cmp_gt_i32 s19, 24
	s_cbranch_scc0 .LBB18_1965
; %bb.1958:
	v_and_b32_e32 v3, 0x7fffffff, v4
	s_mov_b32 s2, 0x47800000
	v_cmp_gt_u32_e32 vcc, s2, v3
	v_mov_b32_e32 v5, 0x80
	s_and_saveexec_b64 s[2:3], vcc
	s_cbranch_execz .LBB18_1964
; %bb.1959:
	s_mov_b32 s10, 0x37ffffff
	v_cmp_lt_u32_e32 vcc, s10, v3
	s_mov_b64 s[10:11], 0
                                        ; implicit-def: $vgpr3
	s_and_saveexec_b64 s[12:13], vcc
	s_xor_b64 s[12:13], exec, s[12:13]
	s_cbranch_execz .LBB18_2131
; %bb.1960:
	v_bfe_u32 v3, v4, 21, 1
	s_mov_b32 s16, 0x88fffff
	v_add3_u32 v3, v4, v3, s16
	s_mov_b64 s[10:11], exec
	v_lshrrev_b32_e32 v3, 21, v3
	s_andn2_saveexec_b64 s[12:13], s[12:13]
	s_cbranch_execnz .LBB18_2132
.LBB18_1961:
	s_or_b64 exec, exec, s[12:13]
	v_mov_b32_e32 v5, 0
	s_and_saveexec_b64 s[12:13], s[10:11]
.LBB18_1962:
	v_lshrrev_b32_e32 v5, 24, v4
	s_movk_i32 s10, 0x80
	v_and_or_b32 v5, v5, s10, v3
.LBB18_1963:
	s_or_b64 exec, exec, s[12:13]
.LBB18_1964:
	s_or_b64 exec, exec, s[2:3]
	s_mov_b64 s[2:3], 0
	global_store_byte v[0:1], v5, off
.LBB18_1965:
	s_and_b64 vcc, exec, s[2:3]
	s_cbranch_vccz .LBB18_1975
; %bb.1966:
	v_and_b32_e32 v5, 0x7fffffff, v4
	s_mov_b32 s2, 0x43f00000
	v_cmp_gt_u32_e32 vcc, s2, v5
                                        ; implicit-def: $vgpr3
	s_and_saveexec_b64 s[2:3], vcc
	s_xor_b64 s[2:3], exec, s[2:3]
	s_cbranch_execz .LBB18_1972
; %bb.1967:
	s_mov_b32 s10, 0x3c7fffff
	v_cmp_lt_u32_e32 vcc, s10, v5
                                        ; implicit-def: $vgpr3
	s_and_saveexec_b64 s[10:11], vcc
	s_xor_b64 s[10:11], exec, s[10:11]
; %bb.1968:
	v_bfe_u32 v3, v4, 20, 1
	s_mov_b32 s12, 0x407ffff
	v_add3_u32 v3, v4, v3, s12
	v_lshrrev_b32_e32 v5, 20, v3
	v_and_b32_e32 v3, 0xff00000, v3
	s_mov_b32 s12, 0x7f00000
	v_mov_b32_e32 v7, 0x7e
	v_cmp_ne_u32_e32 vcc, s12, v3
	v_cndmask_b32_e32 v3, v7, v5, vcc
; %bb.1969:
	s_andn2_saveexec_b64 s[10:11], s[10:11]
; %bb.1970:
	s_mov_b32 s12, 0x46800000
	v_add_f32_e64 v3, |v4|, s12
; %bb.1971:
	s_or_b64 exec, exec, s[10:11]
                                        ; implicit-def: $vgpr5
.LBB18_1972:
	s_andn2_saveexec_b64 s[2:3], s[2:3]
; %bb.1973:
	s_mov_b32 s10, 0x7f800000
	v_mov_b32_e32 v3, 0x7e
	v_mov_b32_e32 v7, 0x7f
	v_cmp_lt_u32_e32 vcc, s10, v5
	v_cndmask_b32_e32 v3, v3, v7, vcc
; %bb.1974:
	s_or_b64 exec, exec, s[2:3]
	v_lshrrev_b32_e32 v5, 24, v4
	s_movk_i32 s2, 0x80
	v_and_or_b32 v3, v5, s2, v3
	global_store_byte v[0:1], v3, off
.LBB18_1975:
	s_mov_b64 s[2:3], 0
.LBB18_1976:
	s_andn2_b64 vcc, exec, s[2:3]
	s_cbranch_vccnz .LBB18_1986
; %bb.1977:
	v_and_b32_e32 v5, 0x7fffffff, v4
	s_mov_b32 s2, 0x47800000
	v_cmp_gt_u32_e32 vcc, s2, v5
                                        ; implicit-def: $vgpr3
	s_and_saveexec_b64 s[2:3], vcc
	s_xor_b64 s[2:3], exec, s[2:3]
	s_cbranch_execz .LBB18_1983
; %bb.1978:
	s_mov_b32 s10, 0x387fffff
	v_cmp_lt_u32_e32 vcc, s10, v5
                                        ; implicit-def: $vgpr3
	s_and_saveexec_b64 s[10:11], vcc
	s_xor_b64 s[10:11], exec, s[10:11]
; %bb.1979:
	v_bfe_u32 v3, v4, 21, 1
	s_mov_b32 s12, 0x80fffff
	v_add3_u32 v3, v4, v3, s12
	v_lshrrev_b32_e32 v3, 21, v3
; %bb.1980:
	s_andn2_saveexec_b64 s[10:11], s[10:11]
; %bb.1981:
	s_mov_b32 s12, 0x43000000
	v_add_f32_e64 v3, |v4|, s12
; %bb.1982:
	s_or_b64 exec, exec, s[10:11]
                                        ; implicit-def: $vgpr5
.LBB18_1983:
	s_andn2_saveexec_b64 s[2:3], s[2:3]
; %bb.1984:
	s_mov_b32 s10, 0x7f800000
	v_mov_b32_e32 v3, 0x7c
	v_mov_b32_e32 v7, 0x7f
	v_cmp_lt_u32_e32 vcc, s10, v5
	v_cndmask_b32_e32 v3, v3, v7, vcc
; %bb.1985:
	s_or_b64 exec, exec, s[2:3]
	v_lshrrev_b32_e32 v5, 24, v4
	s_movk_i32 s2, 0x80
	v_and_or_b32 v3, v5, s2, v3
	global_store_byte v[0:1], v3, off
.LBB18_1986:
	s_mov_b64 s[2:3], 0
	s_mov_b64 s[10:11], -1
.LBB18_1987:
	s_andn2_b64 vcc, exec, s[2:3]
	s_mov_b64 s[2:3], 0
	s_cbranch_vccnz .LBB18_1994
; %bb.1988:
	s_cmp_gt_i32 s19, 14
	s_mov_b64 s[12:13], -1
	s_cbranch_scc0 .LBB18_1992
; %bb.1989:
	s_cmp_eq_u32 s19, 15
	s_mov_b64 s[0:1], -1
	s_cbranch_scc0 .LBB18_1991
; %bb.1990:
	v_bfe_u32 v3, v4, 16, 1
	s_movk_i32 s0, 0x7fff
	v_add3_u32 v3, v4, v3, s0
	v_cmp_o_f32_e32 vcc, v4, v4
	v_mov_b32_e32 v5, 0x7fc0
	v_cndmask_b32_sdwa v3, v5, v3, vcc dst_sel:DWORD dst_unused:UNUSED_PAD src0_sel:DWORD src1_sel:WORD_1
	global_store_short v[0:1], v3, off
	s_mov_b64 s[0:1], 0
	s_mov_b64 s[10:11], -1
.LBB18_1991:
	s_mov_b64 s[12:13], 0
.LBB18_1992:
	s_and_b64 vcc, exec, s[12:13]
	s_cbranch_vccz .LBB18_1994
; %bb.1993:
	s_cmp_lg_u32 s19, 11
	s_mov_b64 s[2:3], -1
	s_cselect_b64 s[0:1], -1, 0
.LBB18_1994:
	s_and_b64 vcc, exec, s[0:1]
	s_cbranch_vccnz .LBB18_2130
; %bb.1995:
	s_andn2_b64 vcc, exec, s[2:3]
	s_cbranch_vccnz .LBB18_1997
.LBB18_1996:
	v_cmp_neq_f32_e32 vcc, 0, v4
	v_cndmask_b32_e64 v3, 0, 1, vcc
	s_mov_b64 s[10:11], -1
	global_store_byte v[0:1], v3, off
.LBB18_1997:
	s_mov_b64 s[0:1], 0
	s_branch .LBB18_1999
.LBB18_1998:
	s_mov_b64 s[0:1], -1
	s_mov_b64 s[10:11], 0
.LBB18_1999:
	s_and_b64 vcc, exec, s[0:1]
	s_cbranch_vccz .LBB18_2038
; %bb.2000:
	s_and_b32 s2, 0xffff, s20
	s_cmp_lt_i32 s2, 5
	s_mov_b64 s[0:1], -1
	s_cbranch_scc1 .LBB18_2021
; %bb.2001:
	s_cmp_lt_i32 s2, 8
	s_cbranch_scc1 .LBB18_2011
; %bb.2002:
	s_cmp_lt_i32 s2, 9
	s_cbranch_scc1 .LBB18_2008
; %bb.2003:
	s_cmp_gt_i32 s2, 9
	s_cbranch_scc0 .LBB18_2005
; %bb.2004:
	v_cvt_f64_f32_e32 v[7:8], v4
	v_mov_b32_e32 v9, 0
	v_mov_b32_e32 v10, v9
	s_mov_b64 s[0:1], 0
	global_store_dwordx4 v[0:1], v[7:10], off
.LBB18_2005:
	s_andn2_b64 vcc, exec, s[0:1]
	s_cbranch_vccnz .LBB18_2007
; %bb.2006:
	v_mov_b32_e32 v5, 0
	global_store_dwordx2 v[0:1], v[4:5], off
.LBB18_2007:
	s_mov_b64 s[0:1], 0
.LBB18_2008:
	s_andn2_b64 vcc, exec, s[0:1]
	s_cbranch_vccnz .LBB18_2010
; %bb.2009:
	v_cvt_f16_f32_e32 v3, v4
	global_store_dword v[0:1], v3, off
.LBB18_2010:
	s_mov_b64 s[0:1], 0
.LBB18_2011:
	s_andn2_b64 vcc, exec, s[0:1]
	s_cbranch_vccnz .LBB18_2020
; %bb.2012:
	s_cmp_lt_i32 s2, 6
	s_mov_b64 s[0:1], -1
	s_cbranch_scc1 .LBB18_2018
; %bb.2013:
	s_cmp_gt_i32 s2, 6
	s_cbranch_scc0 .LBB18_2015
; %bb.2014:
	v_cvt_f64_f32_e32 v[7:8], v4
	s_mov_b64 s[0:1], 0
	global_store_dwordx2 v[0:1], v[7:8], off
.LBB18_2015:
	s_andn2_b64 vcc, exec, s[0:1]
	s_cbranch_vccnz .LBB18_2017
; %bb.2016:
	global_store_dword v[0:1], v4, off
.LBB18_2017:
	s_mov_b64 s[0:1], 0
.LBB18_2018:
	s_andn2_b64 vcc, exec, s[0:1]
	s_cbranch_vccnz .LBB18_2020
; %bb.2019:
	v_cvt_f16_f32_e32 v3, v4
	global_store_short v[0:1], v3, off
.LBB18_2020:
	s_mov_b64 s[0:1], 0
.LBB18_2021:
	s_andn2_b64 vcc, exec, s[0:1]
	s_cbranch_vccnz .LBB18_2037
; %bb.2022:
	s_cmp_lt_i32 s2, 2
	s_mov_b64 s[0:1], -1
	s_cbranch_scc1 .LBB18_2032
; %bb.2023:
	s_cmp_lt_i32 s2, 3
	s_cbranch_scc1 .LBB18_2029
; %bb.2024:
	s_cmp_gt_i32 s2, 3
	s_cbranch_scc0 .LBB18_2026
; %bb.2025:
	v_trunc_f32_e32 v3, v4
	s_mov_b32 s0, 0x2f800000
	v_mul_f32_e64 v5, |v3|, s0
	v_floor_f32_e32 v5, v5
	s_mov_b32 s0, 0xcf800000
	v_cvt_u32_f32_e32 v7, v5
	v_fma_f32 v5, v5, s0, |v3|
	v_cvt_u32_f32_e32 v5, v5
	v_ashrrev_i32_e32 v3, 31, v3
	v_xor_b32_e32 v8, v7, v3
	s_mov_b64 s[0:1], 0
	v_xor_b32_e32 v5, v5, v3
	v_sub_co_u32_e32 v7, vcc, v5, v3
	v_subb_co_u32_e32 v8, vcc, v8, v3, vcc
	global_store_dwordx2 v[0:1], v[7:8], off
.LBB18_2026:
	s_andn2_b64 vcc, exec, s[0:1]
	s_cbranch_vccnz .LBB18_2028
; %bb.2027:
	v_cvt_i32_f32_e32 v3, v4
	global_store_dword v[0:1], v3, off
.LBB18_2028:
	s_mov_b64 s[0:1], 0
.LBB18_2029:
	s_andn2_b64 vcc, exec, s[0:1]
	s_cbranch_vccnz .LBB18_2031
; %bb.2030:
	v_cvt_i32_f32_e32 v3, v4
	global_store_short v[0:1], v3, off
.LBB18_2031:
	s_mov_b64 s[0:1], 0
.LBB18_2032:
	s_andn2_b64 vcc, exec, s[0:1]
	s_cbranch_vccnz .LBB18_2037
; %bb.2033:
	s_cmp_gt_i32 s2, 0
	s_mov_b64 s[0:1], -1
	s_cbranch_scc0 .LBB18_2035
; %bb.2034:
	v_cvt_i32_f32_e32 v3, v4
	s_mov_b64 s[0:1], 0
	global_store_byte v[0:1], v3, off
.LBB18_2035:
	s_andn2_b64 vcc, exec, s[0:1]
	s_cbranch_vccnz .LBB18_2037
; %bb.2036:
	v_trunc_f32_e32 v3, v4
	s_mov_b32 s0, 0x2f800000
	v_mul_f32_e64 v4, |v3|, s0
	v_floor_f32_e32 v4, v4
	s_mov_b32 s0, 0xcf800000
	v_fma_f32 v4, v4, s0, |v3|
	v_cvt_u32_f32_e32 v4, v4
	v_ashrrev_i32_e32 v3, 31, v3
	v_xor_b32_e32 v4, v4, v3
	v_sub_u32_e32 v3, v4, v3
	global_store_byte v[0:1], v3, off
.LBB18_2037:
	s_mov_b64 s[10:11], -1
.LBB18_2038:
	s_andn2_b64 vcc, exec, s[10:11]
	s_cbranch_vccnz .LBB18_2115
; %bb.2039:
	v_add_u32_e32 v0, s18, v2
	v_ashrrev_i32_e32 v1, 31, v0
	v_mov_b32_e32 v2, s9
	v_add_co_u32_e32 v0, vcc, s8, v0
	s_cmp_lt_i32 s20, 11
	v_addc_co_u32_e32 v1, vcc, v2, v1, vcc
	s_cbranch_scc1 .LBB18_2116
; %bb.2040:
	s_and_b32 s16, 0xffff, s20
	s_mov_b64 s[8:9], -1
	s_mov_b64 s[2:3], 0
	s_cmp_gt_i32 s16, 25
	s_mov_b64 s[0:1], 0
	s_cbranch_scc0 .LBB18_2073
; %bb.2041:
	s_cmp_gt_i32 s16, 28
	s_cbranch_scc0 .LBB18_2057
; %bb.2042:
	s_cmp_gt_i32 s16, 43
	;; [unrolled: 3-line block ×3, first 2 shown]
	s_cbranch_scc0 .LBB18_2047
; %bb.2044:
	s_cmp_eq_u32 s16, 46
	s_mov_b64 s[0:1], -1
	s_cbranch_scc0 .LBB18_2046
; %bb.2045:
	v_bfe_u32 v2, v6, 16, 1
	s_movk_i32 s0, 0x7fff
	v_add3_u32 v2, v6, v2, s0
	v_cmp_o_f32_e32 vcc, v6, v6
	v_mov_b32_e32 v3, 0x7fc0
	v_cndmask_b32_sdwa v2, v3, v2, vcc dst_sel:DWORD dst_unused:UNUSED_PAD src0_sel:DWORD src1_sel:WORD_1
	global_store_dword v[0:1], v2, off
	s_mov_b64 s[0:1], 0
.LBB18_2046:
	s_mov_b64 s[8:9], 0
.LBB18_2047:
	s_and_b64 vcc, exec, s[8:9]
	s_cbranch_vccz .LBB18_2052
; %bb.2048:
	s_cmp_eq_u32 s16, 44
	s_mov_b64 s[0:1], -1
	s_cbranch_scc0 .LBB18_2052
; %bb.2049:
	v_bfe_u32 v2, v6, 23, 8
	s_movk_i32 s0, 0xff
	v_cmp_ne_u32_e32 vcc, s0, v2
	v_mov_b32_e32 v3, 0xff
	s_and_saveexec_b64 s[8:9], vcc
; %bb.2050:
	s_mov_b32 s0, 0x3fffff
	v_and_b32_e32 v4, 0x400000, v6
	v_and_or_b32 v2, v6, s0, v2
	v_cmp_ne_u32_e32 vcc, 0, v4
	v_cmp_ne_u32_e64 s[0:1], 0, v2
	s_and_b64 s[0:1], vcc, s[0:1]
	v_lshrrev_b32_e32 v3, 23, v6
	v_cndmask_b32_e64 v2, 0, 1, s[0:1]
	v_add_u32_e32 v3, v3, v2
; %bb.2051:
	s_or_b64 exec, exec, s[8:9]
	s_mov_b64 s[0:1], 0
	global_store_byte v[0:1], v3, off
.LBB18_2052:
	s_mov_b64 s[8:9], 0
.LBB18_2053:
	s_and_b64 vcc, exec, s[8:9]
	s_cbranch_vccz .LBB18_2056
; %bb.2054:
	s_cmp_eq_u32 s16, 29
	s_mov_b64 s[0:1], -1
	s_cbranch_scc0 .LBB18_2056
; %bb.2055:
	v_trunc_f32_e32 v2, v6
	v_mul_f32_e32 v3, 0x2f800000, v2
	v_floor_f32_e32 v4, v3
	v_fmac_f32_e32 v2, 0xcf800000, v4
	v_cvt_u32_f32_e32 v3, v4
	v_cvt_u32_f32_e32 v2, v2
	s_mov_b64 s[0:1], 0
	global_store_dwordx2 v[0:1], v[2:3], off
.LBB18_2056:
	s_mov_b64 s[8:9], 0
.LBB18_2057:
	s_and_b64 vcc, exec, s[8:9]
	s_cbranch_vccz .LBB18_2072
; %bb.2058:
	s_cmp_lt_i32 s16, 27
	s_mov_b64 s[8:9], -1
	s_cbranch_scc1 .LBB18_2064
; %bb.2059:
	v_cvt_u32_f32_e32 v2, v6
	s_cmp_gt_i32 s16, 27
	s_cbranch_scc0 .LBB18_2061
; %bb.2060:
	global_store_dword v[0:1], v2, off
	s_mov_b64 s[8:9], 0
.LBB18_2061:
	s_andn2_b64 vcc, exec, s[8:9]
	s_cbranch_vccnz .LBB18_2063
; %bb.2062:
	global_store_short v[0:1], v2, off
.LBB18_2063:
	s_mov_b64 s[8:9], 0
.LBB18_2064:
	s_andn2_b64 vcc, exec, s[8:9]
	s_cbranch_vccnz .LBB18_2072
; %bb.2065:
	v_and_b32_e32 v2, 0x7fffffff, v6
	s_mov_b32 s8, 0x43800000
	v_cmp_gt_u32_e32 vcc, s8, v2
	v_mov_b32_e32 v3, 0x80
	s_and_saveexec_b64 s[8:9], vcc
	s_cbranch_execz .LBB18_2071
; %bb.2066:
	s_mov_b32 s10, 0x3bffffff
	v_cmp_lt_u32_e32 vcc, s10, v2
	s_mov_b64 s[10:11], 0
                                        ; implicit-def: $vgpr2
	s_and_saveexec_b64 s[12:13], vcc
	s_xor_b64 s[12:13], exec, s[12:13]
	s_cbranch_execz .LBB18_2133
; %bb.2067:
	v_bfe_u32 v2, v6, 20, 1
	s_mov_b32 s17, 0x487ffff
	v_add3_u32 v2, v6, v2, s17
	s_mov_b64 s[10:11], exec
	v_lshrrev_b32_e32 v2, 20, v2
	s_andn2_saveexec_b64 s[12:13], s[12:13]
	s_cbranch_execnz .LBB18_2134
.LBB18_2068:
	s_or_b64 exec, exec, s[12:13]
	v_mov_b32_e32 v3, 0
	s_and_saveexec_b64 s[12:13], s[10:11]
.LBB18_2069:
	v_lshrrev_b32_e32 v3, 24, v6
	s_movk_i32 s10, 0x80
	v_and_or_b32 v3, v3, s10, v2
.LBB18_2070:
	s_or_b64 exec, exec, s[12:13]
.LBB18_2071:
	s_or_b64 exec, exec, s[8:9]
	global_store_byte v[0:1], v3, off
.LBB18_2072:
	s_mov_b64 s[8:9], 0
.LBB18_2073:
	s_and_b64 vcc, exec, s[8:9]
	s_cbranch_vccz .LBB18_2113
; %bb.2074:
	s_cmp_gt_i32 s16, 22
	s_mov_b64 s[2:3], -1
	s_cbranch_scc0 .LBB18_2106
; %bb.2075:
	s_cmp_lt_i32 s16, 24
	s_cbranch_scc1 .LBB18_2095
; %bb.2076:
	s_cmp_gt_i32 s16, 24
	s_cbranch_scc0 .LBB18_2084
; %bb.2077:
	v_and_b32_e32 v2, 0x7fffffff, v6
	s_mov_b32 s2, 0x47800000
	v_cmp_gt_u32_e32 vcc, s2, v2
	v_mov_b32_e32 v3, 0x80
	s_and_saveexec_b64 s[2:3], vcc
	s_cbranch_execz .LBB18_2083
; %bb.2078:
	s_mov_b32 s8, 0x37ffffff
	v_cmp_lt_u32_e32 vcc, s8, v2
	s_mov_b64 s[8:9], 0
                                        ; implicit-def: $vgpr2
	s_and_saveexec_b64 s[10:11], vcc
	s_xor_b64 s[10:11], exec, s[10:11]
	s_cbranch_execz .LBB18_2136
; %bb.2079:
	v_bfe_u32 v2, v6, 21, 1
	s_mov_b32 s12, 0x88fffff
	v_add3_u32 v2, v6, v2, s12
	s_mov_b64 s[8:9], exec
	v_lshrrev_b32_e32 v2, 21, v2
	s_andn2_saveexec_b64 s[10:11], s[10:11]
	s_cbranch_execnz .LBB18_2137
.LBB18_2080:
	s_or_b64 exec, exec, s[10:11]
	v_mov_b32_e32 v3, 0
	s_and_saveexec_b64 s[10:11], s[8:9]
.LBB18_2081:
	v_lshrrev_b32_e32 v3, 24, v6
	s_movk_i32 s8, 0x80
	v_and_or_b32 v3, v3, s8, v2
.LBB18_2082:
	s_or_b64 exec, exec, s[10:11]
.LBB18_2083:
	s_or_b64 exec, exec, s[2:3]
	s_mov_b64 s[2:3], 0
	global_store_byte v[0:1], v3, off
.LBB18_2084:
	s_and_b64 vcc, exec, s[2:3]
	s_cbranch_vccz .LBB18_2094
; %bb.2085:
	v_and_b32_e32 v3, 0x7fffffff, v6
	s_mov_b32 s2, 0x43f00000
	v_cmp_gt_u32_e32 vcc, s2, v3
                                        ; implicit-def: $vgpr2
	s_and_saveexec_b64 s[2:3], vcc
	s_xor_b64 s[2:3], exec, s[2:3]
	s_cbranch_execz .LBB18_2091
; %bb.2086:
	s_mov_b32 s8, 0x3c7fffff
	v_cmp_lt_u32_e32 vcc, s8, v3
                                        ; implicit-def: $vgpr2
	s_and_saveexec_b64 s[8:9], vcc
	s_xor_b64 s[8:9], exec, s[8:9]
; %bb.2087:
	v_bfe_u32 v2, v6, 20, 1
	s_mov_b32 s10, 0x407ffff
	v_add3_u32 v2, v6, v2, s10
	v_lshrrev_b32_e32 v3, 20, v2
	v_and_b32_e32 v2, 0xff00000, v2
	s_mov_b32 s10, 0x7f00000
	v_mov_b32_e32 v4, 0x7e
	v_cmp_ne_u32_e32 vcc, s10, v2
	v_cndmask_b32_e32 v2, v4, v3, vcc
; %bb.2088:
	s_andn2_saveexec_b64 s[8:9], s[8:9]
; %bb.2089:
	s_mov_b32 s10, 0x46800000
	v_add_f32_e64 v2, |v6|, s10
; %bb.2090:
	s_or_b64 exec, exec, s[8:9]
                                        ; implicit-def: $vgpr3
.LBB18_2091:
	s_andn2_saveexec_b64 s[2:3], s[2:3]
; %bb.2092:
	s_mov_b32 s8, 0x7f800000
	v_mov_b32_e32 v2, 0x7e
	v_mov_b32_e32 v4, 0x7f
	v_cmp_lt_u32_e32 vcc, s8, v3
	v_cndmask_b32_e32 v2, v2, v4, vcc
; %bb.2093:
	s_or_b64 exec, exec, s[2:3]
	v_lshrrev_b32_e32 v3, 24, v6
	s_movk_i32 s2, 0x80
	v_and_or_b32 v2, v3, s2, v2
	global_store_byte v[0:1], v2, off
.LBB18_2094:
	s_mov_b64 s[2:3], 0
.LBB18_2095:
	s_andn2_b64 vcc, exec, s[2:3]
	s_cbranch_vccnz .LBB18_2105
; %bb.2096:
	v_and_b32_e32 v3, 0x7fffffff, v6
	s_mov_b32 s2, 0x47800000
	v_cmp_gt_u32_e32 vcc, s2, v3
                                        ; implicit-def: $vgpr2
	s_and_saveexec_b64 s[2:3], vcc
	s_xor_b64 s[2:3], exec, s[2:3]
	s_cbranch_execz .LBB18_2102
; %bb.2097:
	s_mov_b32 s8, 0x387fffff
	v_cmp_lt_u32_e32 vcc, s8, v3
                                        ; implicit-def: $vgpr2
	s_and_saveexec_b64 s[8:9], vcc
	s_xor_b64 s[8:9], exec, s[8:9]
; %bb.2098:
	v_bfe_u32 v2, v6, 21, 1
	s_mov_b32 s10, 0x80fffff
	v_add3_u32 v2, v6, v2, s10
	v_lshrrev_b32_e32 v2, 21, v2
; %bb.2099:
	s_andn2_saveexec_b64 s[8:9], s[8:9]
; %bb.2100:
	s_mov_b32 s10, 0x43000000
	v_add_f32_e64 v2, |v6|, s10
; %bb.2101:
	s_or_b64 exec, exec, s[8:9]
                                        ; implicit-def: $vgpr3
.LBB18_2102:
	s_andn2_saveexec_b64 s[2:3], s[2:3]
; %bb.2103:
	s_mov_b32 s8, 0x7f800000
	v_mov_b32_e32 v2, 0x7c
	v_mov_b32_e32 v4, 0x7f
	v_cmp_lt_u32_e32 vcc, s8, v3
	v_cndmask_b32_e32 v2, v2, v4, vcc
; %bb.2104:
	s_or_b64 exec, exec, s[2:3]
	v_lshrrev_b32_e32 v3, 24, v6
	s_movk_i32 s2, 0x80
	v_and_or_b32 v2, v3, s2, v2
	global_store_byte v[0:1], v2, off
.LBB18_2105:
	s_mov_b64 s[2:3], 0
.LBB18_2106:
	s_andn2_b64 vcc, exec, s[2:3]
	s_mov_b64 s[2:3], 0
	s_cbranch_vccnz .LBB18_2113
; %bb.2107:
	s_cmp_gt_i32 s16, 14
	s_mov_b64 s[8:9], -1
	s_cbranch_scc0 .LBB18_2111
; %bb.2108:
	s_cmp_eq_u32 s16, 15
	s_mov_b64 s[0:1], -1
	s_cbranch_scc0 .LBB18_2110
; %bb.2109:
	v_bfe_u32 v2, v6, 16, 1
	s_movk_i32 s0, 0x7fff
	v_add3_u32 v2, v6, v2, s0
	v_cmp_o_f32_e32 vcc, v6, v6
	v_mov_b32_e32 v3, 0x7fc0
	v_cndmask_b32_sdwa v2, v3, v2, vcc dst_sel:DWORD dst_unused:UNUSED_PAD src0_sel:DWORD src1_sel:WORD_1
	global_store_short v[0:1], v2, off
	s_mov_b64 s[0:1], 0
.LBB18_2110:
	s_mov_b64 s[8:9], 0
.LBB18_2111:
	s_and_b64 vcc, exec, s[8:9]
	s_cbranch_vccz .LBB18_2113
; %bb.2112:
	s_cmp_lg_u32 s16, 11
	s_mov_b64 s[2:3], -1
	s_cselect_b64 s[0:1], -1, 0
.LBB18_2113:
	s_and_b64 vcc, exec, s[0:1]
	s_cbranch_vccnz .LBB18_2135
.LBB18_2114:
	s_mov_b64 s[0:1], 0
	s_branch .LBB18_1716
.LBB18_2115:
	s_mov_b64 s[0:1], 0
                                        ; implicit-def: $sgpr20
                                        ; implicit-def: $vgpr0_vgpr1
	s_branch .LBB18_1715
.LBB18_2116:
	s_mov_b64 s[2:3], 0
	s_mov_b64 s[0:1], -1
	s_branch .LBB18_1716
.LBB18_2117:
	s_trap 2
	s_or_b64 s[14:15], s[14:15], exec
	s_cbranch_execz .LBB18_1572
	s_branch .LBB18_1573
.LBB18_2118:
	s_andn2_saveexec_b64 s[18:19], s[18:19]
	s_cbranch_execz .LBB18_1664
.LBB18_2119:
	s_mov_b32 s21, 0x46000000
	v_add_f32_e64 v1, |v0|, s21
	v_and_b32_e32 v1, 0xff, v1
	v_cmp_ne_u32_e32 vcc, 0, v1
	s_andn2_b64 s[16:17], s[16:17], exec
	s_and_b64 s[22:23], vcc, exec
	s_or_b64 s[16:17], s[16:17], s[22:23]
	s_or_b64 exec, exec, s[18:19]
	v_mov_b32_e32 v5, 0
	s_and_saveexec_b64 s[18:19], s[16:17]
	s_cbranch_execnz .LBB18_1665
	s_branch .LBB18_1666
.LBB18_2120:
	s_trap 2
	s_or_b64 s[14:15], s[14:15], exec
	s_cbranch_execz .LBB18_1712
	s_branch .LBB18_1713
.LBB18_2121:
	s_andn2_saveexec_b64 s[16:17], s[16:17]
	s_cbranch_execz .LBB18_1677
.LBB18_2122:
	s_mov_b32 s18, 0x42800000
	v_add_f32_e64 v1, |v0|, s18
	v_and_b32_e32 v1, 0xff, v1
	v_cmp_ne_u32_e32 vcc, 0, v1
	s_andn2_b64 s[12:13], s[12:13], exec
	s_and_b64 s[18:19], vcc, exec
	s_or_b64 s[12:13], s[12:13], s[18:19]
	s_or_b64 exec, exec, s[16:17]
	v_mov_b32_e32 v5, 0
	s_and_saveexec_b64 s[16:17], s[12:13]
	s_cbranch_execnz .LBB18_1678
	s_branch .LBB18_1679
.LBB18_2123:
	s_andn2_saveexec_b64 s[16:17], s[16:17]
	s_cbranch_execz .LBB18_1829
.LBB18_2124:
	s_mov_b32 s21, 0x46000000
	v_add_f32_e64 v3, |v2|, s21
	v_and_b32_e32 v3, 0xff, v3
	v_cmp_ne_u32_e32 vcc, 0, v3
	s_andn2_b64 s[12:13], s[12:13], exec
	s_and_b64 s[22:23], vcc, exec
	s_or_b64 s[12:13], s[12:13], s[22:23]
	s_or_b64 exec, exec, s[16:17]
	v_mov_b32_e32 v7, 0
	s_and_saveexec_b64 s[16:17], s[12:13]
	s_cbranch_execnz .LBB18_1830
	s_branch .LBB18_1831
.LBB18_2125:
	s_trap 2
	s_or_b64 s[14:15], s[14:15], exec
	s_cbranch_execz .LBB18_1877
	s_branch .LBB18_1878
.LBB18_2126:
	s_andn2_saveexec_b64 s[12:13], s[12:13]
	s_cbranch_execz .LBB18_1842
.LBB18_2127:
	s_mov_b32 s16, 0x42800000
	v_add_f32_e64 v3, |v2|, s16
	v_and_b32_e32 v3, 0xff, v3
	v_cmp_ne_u32_e32 vcc, 0, v3
	s_andn2_b64 s[10:11], s[10:11], exec
	s_and_b64 s[16:17], vcc, exec
	s_or_b64 s[10:11], s[10:11], s[16:17]
	s_or_b64 exec, exec, s[12:13]
	v_mov_b32_e32 v7, 0
	s_and_saveexec_b64 s[12:13], s[10:11]
	s_cbranch_execnz .LBB18_1843
	s_branch .LBB18_1844
.LBB18_2128:
	s_andn2_saveexec_b64 s[16:17], s[16:17]
	s_cbranch_execz .LBB18_1948
.LBB18_2129:
	s_mov_b32 s21, 0x46000000
	v_add_f32_e64 v3, |v4|, s21
	v_and_b32_e32 v3, 0xff, v3
	v_cmp_ne_u32_e32 vcc, 0, v3
	s_andn2_b64 s[12:13], s[12:13], exec
	s_and_b64 s[22:23], vcc, exec
	s_or_b64 s[12:13], s[12:13], s[22:23]
	s_or_b64 exec, exec, s[16:17]
	v_mov_b32_e32 v5, 0
	s_and_saveexec_b64 s[16:17], s[12:13]
	s_cbranch_execnz .LBB18_1949
	s_branch .LBB18_1950
.LBB18_2130:
	s_trap 2
	s_or_b64 s[14:15], s[14:15], exec
	s_cbranch_execz .LBB18_1996
	s_branch .LBB18_1997
.LBB18_2131:
	s_andn2_saveexec_b64 s[12:13], s[12:13]
	s_cbranch_execz .LBB18_1961
.LBB18_2132:
	s_mov_b32 s16, 0x42800000
	v_add_f32_e64 v3, |v4|, s16
	v_and_b32_e32 v3, 0xff, v3
	v_cmp_ne_u32_e32 vcc, 0, v3
	s_andn2_b64 s[10:11], s[10:11], exec
	s_and_b64 s[16:17], vcc, exec
	s_or_b64 s[10:11], s[10:11], s[16:17]
	s_or_b64 exec, exec, s[12:13]
	v_mov_b32_e32 v5, 0
	s_and_saveexec_b64 s[12:13], s[10:11]
	s_cbranch_execnz .LBB18_1962
	s_branch .LBB18_1963
.LBB18_2133:
	s_andn2_saveexec_b64 s[12:13], s[12:13]
	s_cbranch_execz .LBB18_2068
.LBB18_2134:
	s_mov_b32 s17, 0x46000000
	v_add_f32_e64 v2, |v6|, s17
	v_and_b32_e32 v2, 0xff, v2
	v_cmp_ne_u32_e32 vcc, 0, v2
	s_andn2_b64 s[10:11], s[10:11], exec
	s_and_b64 s[18:19], vcc, exec
	s_or_b64 s[10:11], s[10:11], s[18:19]
	s_or_b64 exec, exec, s[12:13]
	v_mov_b32_e32 v3, 0
	s_and_saveexec_b64 s[12:13], s[10:11]
	s_cbranch_execnz .LBB18_2069
	s_branch .LBB18_2070
.LBB18_2135:
	s_mov_b64 s[2:3], 0
	s_or_b64 s[14:15], s[14:15], exec
	s_trap 2
	s_branch .LBB18_2114
.LBB18_2136:
	s_andn2_saveexec_b64 s[10:11], s[10:11]
	s_cbranch_execz .LBB18_2080
.LBB18_2137:
	s_mov_b32 s12, 0x42800000
	v_add_f32_e64 v2, |v6|, s12
	v_and_b32_e32 v2, 0xff, v2
	v_cmp_ne_u32_e32 vcc, 0, v2
	s_andn2_b64 s[8:9], s[8:9], exec
	s_and_b64 s[12:13], vcc, exec
	s_or_b64 s[8:9], s[8:9], s[12:13]
	s_or_b64 exec, exec, s[10:11]
	v_mov_b32_e32 v3, 0
	s_and_saveexec_b64 s[10:11], s[8:9]
	s_cbranch_execnz .LBB18_2081
	s_branch .LBB18_2082
	.section	.rodata,"a",@progbits
	.p2align	6, 0x0
	.amdhsa_kernel _ZN2at6native32elementwise_kernel_manual_unrollILi128ELi4EZNS0_15gpu_kernel_implIZZZNS0_12_GLOBAL__N_130modified_bessel_i1_kernel_cudaERNS_18TensorIteratorBaseEENKUlvE_clEvENKUlvE0_clEvEUlfE_EEvS5_RKT_EUlibE_EEviT1_
		.amdhsa_group_segment_fixed_size 0
		.amdhsa_private_segment_fixed_size 0
		.amdhsa_kernarg_size 40
		.amdhsa_user_sgpr_count 6
		.amdhsa_user_sgpr_private_segment_buffer 1
		.amdhsa_user_sgpr_dispatch_ptr 0
		.amdhsa_user_sgpr_queue_ptr 0
		.amdhsa_user_sgpr_kernarg_segment_ptr 1
		.amdhsa_user_sgpr_dispatch_id 0
		.amdhsa_user_sgpr_flat_scratch_init 0
		.amdhsa_user_sgpr_private_segment_size 0
		.amdhsa_uses_dynamic_stack 0
		.amdhsa_system_sgpr_private_segment_wavefront_offset 0
		.amdhsa_system_sgpr_workgroup_id_x 1
		.amdhsa_system_sgpr_workgroup_id_y 0
		.amdhsa_system_sgpr_workgroup_id_z 0
		.amdhsa_system_sgpr_workgroup_info 0
		.amdhsa_system_vgpr_workitem_id 0
		.amdhsa_next_free_vgpr 13
		.amdhsa_next_free_sgpr 44
		.amdhsa_reserve_vcc 1
		.amdhsa_reserve_flat_scratch 0
		.amdhsa_float_round_mode_32 0
		.amdhsa_float_round_mode_16_64 0
		.amdhsa_float_denorm_mode_32 3
		.amdhsa_float_denorm_mode_16_64 3
		.amdhsa_dx10_clamp 1
		.amdhsa_ieee_mode 1
		.amdhsa_fp16_overflow 0
		.amdhsa_exception_fp_ieee_invalid_op 0
		.amdhsa_exception_fp_denorm_src 0
		.amdhsa_exception_fp_ieee_div_zero 0
		.amdhsa_exception_fp_ieee_overflow 0
		.amdhsa_exception_fp_ieee_underflow 0
		.amdhsa_exception_fp_ieee_inexact 0
		.amdhsa_exception_int_div_zero 0
	.end_amdhsa_kernel
	.section	.text._ZN2at6native32elementwise_kernel_manual_unrollILi128ELi4EZNS0_15gpu_kernel_implIZZZNS0_12_GLOBAL__N_130modified_bessel_i1_kernel_cudaERNS_18TensorIteratorBaseEENKUlvE_clEvENKUlvE0_clEvEUlfE_EEvS5_RKT_EUlibE_EEviT1_,"axG",@progbits,_ZN2at6native32elementwise_kernel_manual_unrollILi128ELi4EZNS0_15gpu_kernel_implIZZZNS0_12_GLOBAL__N_130modified_bessel_i1_kernel_cudaERNS_18TensorIteratorBaseEENKUlvE_clEvENKUlvE0_clEvEUlfE_EEvS5_RKT_EUlibE_EEviT1_,comdat
.Lfunc_end18:
	.size	_ZN2at6native32elementwise_kernel_manual_unrollILi128ELi4EZNS0_15gpu_kernel_implIZZZNS0_12_GLOBAL__N_130modified_bessel_i1_kernel_cudaERNS_18TensorIteratorBaseEENKUlvE_clEvENKUlvE0_clEvEUlfE_EEvS5_RKT_EUlibE_EEviT1_, .Lfunc_end18-_ZN2at6native32elementwise_kernel_manual_unrollILi128ELi4EZNS0_15gpu_kernel_implIZZZNS0_12_GLOBAL__N_130modified_bessel_i1_kernel_cudaERNS_18TensorIteratorBaseEENKUlvE_clEvENKUlvE0_clEvEUlfE_EEvS5_RKT_EUlibE_EEviT1_
                                        ; -- End function
	.set _ZN2at6native32elementwise_kernel_manual_unrollILi128ELi4EZNS0_15gpu_kernel_implIZZZNS0_12_GLOBAL__N_130modified_bessel_i1_kernel_cudaERNS_18TensorIteratorBaseEENKUlvE_clEvENKUlvE0_clEvEUlfE_EEvS5_RKT_EUlibE_EEviT1_.num_vgpr, 13
	.set _ZN2at6native32elementwise_kernel_manual_unrollILi128ELi4EZNS0_15gpu_kernel_implIZZZNS0_12_GLOBAL__N_130modified_bessel_i1_kernel_cudaERNS_18TensorIteratorBaseEENKUlvE_clEvENKUlvE0_clEvEUlfE_EEvS5_RKT_EUlibE_EEviT1_.num_agpr, 0
	.set _ZN2at6native32elementwise_kernel_manual_unrollILi128ELi4EZNS0_15gpu_kernel_implIZZZNS0_12_GLOBAL__N_130modified_bessel_i1_kernel_cudaERNS_18TensorIteratorBaseEENKUlvE_clEvENKUlvE0_clEvEUlfE_EEvS5_RKT_EUlibE_EEviT1_.numbered_sgpr, 44
	.set _ZN2at6native32elementwise_kernel_manual_unrollILi128ELi4EZNS0_15gpu_kernel_implIZZZNS0_12_GLOBAL__N_130modified_bessel_i1_kernel_cudaERNS_18TensorIteratorBaseEENKUlvE_clEvENKUlvE0_clEvEUlfE_EEvS5_RKT_EUlibE_EEviT1_.num_named_barrier, 0
	.set _ZN2at6native32elementwise_kernel_manual_unrollILi128ELi4EZNS0_15gpu_kernel_implIZZZNS0_12_GLOBAL__N_130modified_bessel_i1_kernel_cudaERNS_18TensorIteratorBaseEENKUlvE_clEvENKUlvE0_clEvEUlfE_EEvS5_RKT_EUlibE_EEviT1_.private_seg_size, 0
	.set _ZN2at6native32elementwise_kernel_manual_unrollILi128ELi4EZNS0_15gpu_kernel_implIZZZNS0_12_GLOBAL__N_130modified_bessel_i1_kernel_cudaERNS_18TensorIteratorBaseEENKUlvE_clEvENKUlvE0_clEvEUlfE_EEvS5_RKT_EUlibE_EEviT1_.uses_vcc, 1
	.set _ZN2at6native32elementwise_kernel_manual_unrollILi128ELi4EZNS0_15gpu_kernel_implIZZZNS0_12_GLOBAL__N_130modified_bessel_i1_kernel_cudaERNS_18TensorIteratorBaseEENKUlvE_clEvENKUlvE0_clEvEUlfE_EEvS5_RKT_EUlibE_EEviT1_.uses_flat_scratch, 0
	.set _ZN2at6native32elementwise_kernel_manual_unrollILi128ELi4EZNS0_15gpu_kernel_implIZZZNS0_12_GLOBAL__N_130modified_bessel_i1_kernel_cudaERNS_18TensorIteratorBaseEENKUlvE_clEvENKUlvE0_clEvEUlfE_EEvS5_RKT_EUlibE_EEviT1_.has_dyn_sized_stack, 0
	.set _ZN2at6native32elementwise_kernel_manual_unrollILi128ELi4EZNS0_15gpu_kernel_implIZZZNS0_12_GLOBAL__N_130modified_bessel_i1_kernel_cudaERNS_18TensorIteratorBaseEENKUlvE_clEvENKUlvE0_clEvEUlfE_EEvS5_RKT_EUlibE_EEviT1_.has_recursion, 0
	.set _ZN2at6native32elementwise_kernel_manual_unrollILi128ELi4EZNS0_15gpu_kernel_implIZZZNS0_12_GLOBAL__N_130modified_bessel_i1_kernel_cudaERNS_18TensorIteratorBaseEENKUlvE_clEvENKUlvE0_clEvEUlfE_EEvS5_RKT_EUlibE_EEviT1_.has_indirect_call, 0
	.section	.AMDGPU.csdata,"",@progbits
; Kernel info:
; codeLenInByte = 45968
; TotalNumSgprs: 48
; NumVgprs: 13
; ScratchSize: 0
; MemoryBound: 1
; FloatMode: 240
; IeeeMode: 1
; LDSByteSize: 0 bytes/workgroup (compile time only)
; SGPRBlocks: 5
; VGPRBlocks: 3
; NumSGPRsForWavesPerEU: 48
; NumVGPRsForWavesPerEU: 13
; Occupancy: 10
; WaveLimiterHint : 0
; COMPUTE_PGM_RSRC2:SCRATCH_EN: 0
; COMPUTE_PGM_RSRC2:USER_SGPR: 6
; COMPUTE_PGM_RSRC2:TRAP_HANDLER: 0
; COMPUTE_PGM_RSRC2:TGID_X_EN: 1
; COMPUTE_PGM_RSRC2:TGID_Y_EN: 0
; COMPUTE_PGM_RSRC2:TGID_Z_EN: 0
; COMPUTE_PGM_RSRC2:TIDIG_COMP_CNT: 0
	.section	.text._ZN2at6native32elementwise_kernel_manual_unrollILi128ELi4EZNS0_15gpu_kernel_implIZZZNS0_12_GLOBAL__N_130modified_bessel_i1_kernel_cudaERNS_18TensorIteratorBaseEENKUlvE_clEvENKUlvE0_clEvEUlfE_EEvS5_RKT_EUlibE0_EEviT1_,"axG",@progbits,_ZN2at6native32elementwise_kernel_manual_unrollILi128ELi4EZNS0_15gpu_kernel_implIZZZNS0_12_GLOBAL__N_130modified_bessel_i1_kernel_cudaERNS_18TensorIteratorBaseEENKUlvE_clEvENKUlvE0_clEvEUlfE_EEvS5_RKT_EUlibE0_EEviT1_,comdat
	.globl	_ZN2at6native32elementwise_kernel_manual_unrollILi128ELi4EZNS0_15gpu_kernel_implIZZZNS0_12_GLOBAL__N_130modified_bessel_i1_kernel_cudaERNS_18TensorIteratorBaseEENKUlvE_clEvENKUlvE0_clEvEUlfE_EEvS5_RKT_EUlibE0_EEviT1_ ; -- Begin function _ZN2at6native32elementwise_kernel_manual_unrollILi128ELi4EZNS0_15gpu_kernel_implIZZZNS0_12_GLOBAL__N_130modified_bessel_i1_kernel_cudaERNS_18TensorIteratorBaseEENKUlvE_clEvENKUlvE0_clEvEUlfE_EEvS5_RKT_EUlibE0_EEviT1_
	.p2align	8
	.type	_ZN2at6native32elementwise_kernel_manual_unrollILi128ELi4EZNS0_15gpu_kernel_implIZZZNS0_12_GLOBAL__N_130modified_bessel_i1_kernel_cudaERNS_18TensorIteratorBaseEENKUlvE_clEvENKUlvE0_clEvEUlfE_EEvS5_RKT_EUlibE0_EEviT1_,@function
_ZN2at6native32elementwise_kernel_manual_unrollILi128ELi4EZNS0_15gpu_kernel_implIZZZNS0_12_GLOBAL__N_130modified_bessel_i1_kernel_cudaERNS_18TensorIteratorBaseEENKUlvE_clEvENKUlvE0_clEvEUlfE_EEvS5_RKT_EUlibE0_EEviT1_: ; @_ZN2at6native32elementwise_kernel_manual_unrollILi128ELi4EZNS0_15gpu_kernel_implIZZZNS0_12_GLOBAL__N_130modified_bessel_i1_kernel_cudaERNS_18TensorIteratorBaseEENKUlvE_clEvENKUlvE0_clEvEUlfE_EEvS5_RKT_EUlibE0_EEviT1_
; %bb.0:
	s_load_dword s70, s[4:5], 0x0
	s_load_dword s33, s[4:5], 0x8
	s_add_u32 s34, s4, 8
	s_addc_u32 s35, s5, 0
	v_lshl_or_b32 v8, s6, 9, v0
	v_or_b32_e32 v15, 0x180, v8
	s_waitcnt lgkmcnt(0)
	s_add_i32 s72, s33, -1
	s_cmp_gt_u32 s72, 1
	v_cmp_le_i32_e32 vcc, s70, v15
	s_cselect_b64 s[40:41], -1, 0
	s_mov_b64 s[6:7], 0
	s_mov_b64 s[28:29], 0
	s_and_saveexec_b64 s[0:1], vcc
	s_xor_b64 s[42:43], exec, s[0:1]
	s_cbranch_execz .LBB19_1134
; %bb.1:
	v_mov_b32_e32 v0, 0
	global_load_ushort v0, v0, s[34:35] offset:345
	s_load_dwordx4 s[36:39], s[34:35], 0x4
	s_load_dwordx2 s[44:45], s[34:35], 0x14
	s_load_dwordx4 s[28:31], s[34:35], 0xc4
	s_load_dwordx4 s[24:27], s[34:35], 0x148
	s_cmp_lg_u32 s33, 0
	s_cselect_b64 s[50:51], -1, 0
	s_add_u32 s48, s34, 0xc4
	s_addc_u32 s49, s35, 0
	s_min_u32 s75, s72, 15
	s_cmp_gt_u32 s33, 1
	s_cselect_b64 s[46:47], -1, 0
	v_cmp_gt_i32_e32 vcc, s70, v8
	s_mov_b64 s[2:3], -1
	s_mov_b64 s[60:61], 0
	s_mov_b64 s[54:55], 0
	;; [unrolled: 1-line block ×3, first 2 shown]
	s_waitcnt vmcnt(0)
	v_readfirstlane_b32 s73, v0
	s_and_b32 s0, 0xffff, s73
	s_lshr_b32 s74, s0, 8
	s_and_saveexec_b64 s[56:57], vcc
	s_cbranch_execz .LBB19_278
; %bb.2:
	s_andn2_b64 vcc, exec, s[40:41]
	s_cbranch_vccnz .LBB19_7
; %bb.3:
	s_andn2_b64 vcc, exec, s[50:51]
	s_cbranch_vccnz .LBB19_8
; %bb.4:
	s_add_i32 s59, s75, 1
	s_cmp_eq_u32 s72, 2
	s_cbranch_scc1 .LBB19_9
; %bb.5:
	s_and_b32 s58, s59, 28
	v_mov_b32_e32 v2, 0
	s_mov_b32 s62, 0
	s_mov_b64 s[52:53], s[34:35]
	s_mov_b64 s[54:55], s[48:49]
	v_mov_b32_e32 v0, 0
	v_mov_b32_e32 v1, v8
.LBB19_6:                               ; =>This Inner Loop Header: Depth=1
	s_load_dwordx8 s[16:23], s[52:53], 0x4
	s_load_dwordx4 s[0:3], s[52:53], 0x24
	s_load_dwordx8 s[8:15], s[54:55], 0x0
	s_add_u32 s52, s52, 48
	s_addc_u32 s53, s53, 0
	s_waitcnt lgkmcnt(0)
	v_mul_hi_u32 v3, s17, v1
	s_add_i32 s62, s62, 4
	s_add_u32 s54, s54, 32
	s_addc_u32 s55, s55, 0
	v_add_u32_e32 v3, v1, v3
	v_lshrrev_b32_e32 v3, s18, v3
	v_mul_lo_u32 v4, v3, s16
	v_mul_hi_u32 v5, s20, v3
	s_cmp_lg_u32 s58, s62
	v_sub_u32_e32 v1, v1, v4
	v_add_u32_e32 v4, v3, v5
	v_mul_lo_u32 v5, v1, s8
	v_mul_lo_u32 v6, v1, s9
	v_lshrrev_b32_e32 v1, s21, v4
	v_mul_lo_u32 v4, v1, s19
	v_mul_hi_u32 v7, s23, v1
	v_sub_u32_e32 v3, v3, v4
	v_add_u32_e32 v4, v1, v7
	v_lshrrev_b32_e32 v4, s0, v4
	v_mul_hi_u32 v9, s2, v4
	v_mul_lo_u32 v10, v4, s22
	v_mul_lo_u32 v7, v3, s10
	;; [unrolled: 1-line block ×3, first 2 shown]
	v_sub_u32_e32 v10, v1, v10
	v_add_u32_e32 v1, v4, v9
	v_lshrrev_b32_e32 v1, s3, v1
	v_mul_lo_u32 v9, v1, s1
	v_mul_lo_u32 v11, v10, s12
	;; [unrolled: 1-line block ×3, first 2 shown]
	v_add3_u32 v0, v5, v0, v7
	v_sub_u32_e32 v4, v4, v9
	v_mul_lo_u32 v9, v4, s14
	v_mul_lo_u32 v4, v4, s15
	v_add3_u32 v2, v6, v2, v3
	v_add3_u32 v0, v11, v0, v9
	;; [unrolled: 1-line block ×3, first 2 shown]
	s_cbranch_scc1 .LBB19_6
	s_branch .LBB19_10
.LBB19_7:
                                        ; implicit-def: $vgpr0
                                        ; implicit-def: $vgpr2
	s_branch .LBB19_14
.LBB19_8:
	v_mov_b32_e32 v0, 0
	v_mov_b32_e32 v2, 0
	s_branch .LBB19_13
.LBB19_9:
	s_mov_b32 s58, 0
	v_mov_b32_e32 v0, 0
	v_mov_b32_e32 v2, 0
	;; [unrolled: 1-line block ×3, first 2 shown]
.LBB19_10:
	s_and_b32 s8, s59, 3
	s_cmp_eq_u32 s8, 0
	s_cbranch_scc1 .LBB19_13
; %bb.11:
	s_lshl_b32 s0, s58, 3
	s_add_u32 s0, s34, s0
	s_addc_u32 s1, s35, 0
	s_add_u32 s0, s0, 0xc4
	s_addc_u32 s1, s1, 0
	s_mul_i32 s2, s58, 12
	s_add_u32 s2, s34, s2
	s_addc_u32 s3, s35, 0
.LBB19_12:                              ; =>This Inner Loop Header: Depth=1
	s_load_dwordx2 s[10:11], s[2:3], 0x4
	s_load_dword s9, s[2:3], 0xc
	s_load_dwordx2 s[12:13], s[0:1], 0x0
	s_add_u32 s2, s2, 12
	s_addc_u32 s3, s3, 0
	s_waitcnt lgkmcnt(0)
	v_mul_hi_u32 v3, s11, v1
	s_add_u32 s0, s0, 8
	s_addc_u32 s1, s1, 0
	s_add_i32 s8, s8, -1
	v_add_u32_e32 v3, v1, v3
	v_lshrrev_b32_e32 v4, s9, v3
	v_mul_lo_u32 v3, v4, s10
	s_cmp_lg_u32 s8, 0
	v_sub_u32_e32 v3, v1, v3
	v_mad_u64_u32 v[0:1], s[10:11], v3, s12, v[0:1]
	v_mad_u64_u32 v[2:3], s[10:11], v3, s13, v[2:3]
	v_mov_b32_e32 v1, v4
	s_cbranch_scc1 .LBB19_12
.LBB19_13:
	s_cbranch_execnz .LBB19_16
.LBB19_14:
	s_waitcnt lgkmcnt(0)
	v_mul_hi_u32 v0, s37, v8
	s_andn2_b64 vcc, exec, s[46:47]
	v_add_u32_e32 v0, v8, v0
	v_lshrrev_b32_e32 v1, s38, v0
	v_mul_lo_u32 v0, v1, s36
	v_sub_u32_e32 v2, v8, v0
	v_mul_lo_u32 v0, v2, s28
	v_mul_lo_u32 v2, v2, s29
	s_cbranch_vccnz .LBB19_16
; %bb.15:
	v_mul_hi_u32 v3, s44, v1
	v_add_u32_e32 v3, v1, v3
	v_lshrrev_b32_e32 v3, s45, v3
	v_mul_lo_u32 v3, v3, s39
	v_sub_u32_e32 v3, v1, v3
	v_mad_u64_u32 v[0:1], s[0:1], v3, s30, v[0:1]
	v_mad_u64_u32 v[2:3], s[0:1], v3, s31, v[2:3]
.LBB19_16:
	s_waitcnt lgkmcnt(0)
	v_mov_b32_e32 v3, s27
	s_and_b32 s12, 0xffff, s74
	v_add_co_u32_e32 v1, vcc, s26, v2
	s_cmp_lt_i32 s12, 11
	v_addc_co_u32_e32 v2, vcc, 0, v3, vcc
	s_cbranch_scc1 .LBB19_23
; %bb.17:
	s_cmp_gt_i32 s12, 25
	s_cbranch_scc0 .LBB19_44
; %bb.18:
	s_cmp_gt_i32 s12, 28
	s_cbranch_scc0 .LBB19_47
	;; [unrolled: 3-line block ×4, first 2 shown]
; %bb.21:
	s_cmp_eq_u32 s12, 46
	s_mov_b64 s[8:9], 0
	s_cbranch_scc0 .LBB19_53
; %bb.22:
	global_load_dword v3, v[1:2], off
	s_mov_b64 s[0:1], -1
	s_mov_b64 s[2:3], 0
	s_waitcnt vmcnt(0)
	v_lshlrev_b32_e32 v3, 16, v3
	s_branch .LBB19_55
.LBB19_23:
	s_mov_b64 s[2:3], 0
                                        ; implicit-def: $vgpr3
	s_mov_b64 s[0:1], 0
	s_cbranch_execnz .LBB19_228
.LBB19_24:
	s_andn2_b64 vcc, exec, s[0:1]
	s_cbranch_vccnz .LBB19_275
.LBB19_25:
	s_mov_b32 s0, 0x41000000
	s_waitcnt vmcnt(0)
	v_cmp_le_f32_e64 s[0:1], |v3|, s0
                                        ; implicit-def: $vgpr1
	s_and_saveexec_b64 s[8:9], s[0:1]
	s_xor_b64 s[8:9], exec, s[8:9]
	s_cbranch_execz .LBB19_31
; %bb.26:
	v_fma_f32 v1, |v3|, 0.5, -2.0
	v_mov_b32_e32 v2, 0xa3c2be86
	v_fmac_f32_e32 v2, 0x224cf950, v1
	v_mov_b32_e32 v4, 0xa24cf950
	v_fmac_f32_e32 v4, v1, v2
	v_add_f32_e32 v4, 0x25331f1f, v4
	v_fma_f32 v2, v1, v4, -v2
	v_add_f32_e32 v2, 0xa69f5554, v2
	v_fma_f32 v4, v1, v2, -v4
	;; [unrolled: 2-line block ×25, first 2 shown]
	v_add_f32_e32 v2, 0xbe34a688, v2
	s_mov_b32 s0, 0x3fb8aa3b
	v_fma_f32 v1, v1, v2, -v4
	v_mul_f32_e64 v2, |v3|, s0
	v_rndne_f32_e32 v5, v2
	v_sub_f32_e32 v6, v2, v5
	v_fma_f32 v2, |v3|, s0, -v2
	s_mov_b32 s0, 0x32a5705f
	v_fma_f32 v2, |v3|, s0, v2
	v_add_f32_e32 v2, v6, v2
	v_exp_f32_e32 v6, v2
	v_cvt_i32_f32_e32 v5, v5
	v_add_f32_e32 v1, 0x3e81531c, v1
	v_sub_f32_e32 v1, v1, v4
	v_mul_f32_e32 v1, 0.5, v1
	s_mov_b32 s0, 0xc2ce8ed0
	v_mul_f32_e64 v2, |v3|, v1
	v_ldexp_f32 v1, v6, v5
	v_cmp_nlt_f32_e64 s[0:1], |v3|, s0
	v_cndmask_b32_e64 v1, 0, v1, s[0:1]
	s_mov_b32 s0, 0x42b17218
	v_mov_b32_e32 v4, 0x7f800000
	v_cmp_ngt_f32_e64 s[0:1], |v3|, s0
	v_cmp_ngt_f32_e32 vcc, 0, v3
	v_cndmask_b32_e64 v3, v4, v1, s[0:1]
                                        ; implicit-def: $vgpr1
	s_and_saveexec_b64 s[0:1], vcc
	s_xor_b64 s[0:1], exec, s[0:1]
; %bb.27:
	v_mul_f32_e32 v1, v3, v2
                                        ; implicit-def: $vgpr3
                                        ; implicit-def: $vgpr2
; %bb.28:
	s_andn2_saveexec_b64 s[0:1], s[0:1]
; %bb.29:
	v_mul_f32_e64 v1, v2, -v3
; %bb.30:
	s_or_b64 exec, exec, s[0:1]
                                        ; implicit-def: $vgpr3
.LBB19_31:
	s_andn2_saveexec_b64 s[8:9], s[8:9]
	s_cbranch_execz .LBB19_37
; %bb.32:
	v_and_b32_e32 v1, 0x7fffffff, v3
	s_mov_b32 s10, 0x42000000
	v_div_scale_f32 v2, s[0:1], v1, v1, s10
	v_div_scale_f32 v1, vcc, s10, v1, s10
	s_mov_b32 s11, 0x3fb8aa3b
	s_mov_b32 s12, 0x32a5705f
	v_mov_b32_e32 v4, 0x22a2dc57
	v_mov_b32_e32 v6, 0xa30aab6e
	v_cmp_ngt_f32_e64 s[0:1], 0, v3
	v_rcp_f32_e32 v5, v2
	v_fma_f32 v7, -v2, v5, 1.0
	v_fmac_f32_e32 v5, v7, v5
	v_mul_f32_e32 v7, v1, v5
	v_fma_f32 v9, -v2, v7, v1
	v_fmac_f32_e32 v7, v9, v5
	v_fma_f32 v1, -v2, v7, v1
	v_div_fmas_f32 v1, v1, v5, v7
	v_mul_f32_e64 v2, |v3|, s11
	v_rndne_f32_e32 v5, v2
	v_fma_f32 v7, |v3|, s11, -v2
	v_sub_f32_e32 v2, v2, v5
	v_fma_f32 v7, |v3|, s12, v7
	v_add_f32_e32 v2, v2, v7
	v_cvt_i32_f32_e32 v5, v5
	v_exp_f32_e32 v2, v2
	s_mov_b32 s11, 0xc2ce8ed0
	s_mov_b32 s12, 0x42b17218
	v_cmp_nlt_f32_e64 vcc, |v3|, s11
	v_ldexp_f32 v2, v2, v5
	v_mov_b32_e32 v7, 0x7f800000
	v_cndmask_b32_e32 v2, 0, v2, vcc
	v_cmp_ngt_f32_e64 vcc, |v3|, s12
	v_div_fixup_f32 v1, v1, |v3|, s10
	v_add_f32_e32 v1, -2.0, v1
	v_fmac_f32_e32 v4, 0x230aab6e, v1
	v_fmac_f32_e32 v6, v1, v4
	v_add_f32_e32 v5, 0xa456751e, v6
	v_fma_f32 v4, v1, v5, -v4
	v_add_f32_e32 v4, 0xa4140365, v4
	v_fma_f32 v5, v1, v4, -v5
	;; [unrolled: 2-line block ×22, first 2 shown]
	v_add_f32_e32 v1, 0x3f4750c6, v1
	v_cndmask_b32_e32 v2, v7, v2, vcc
	v_sub_f32_e32 v4, v1, v5
                                        ; implicit-def: $vgpr1
	s_and_saveexec_b64 s[10:11], s[0:1]
	s_xor_b64 s[10:11], exec, s[10:11]
	s_cbranch_execz .LBB19_34
; %bb.33:
	s_mov_b32 s0, 0xf800000
	s_mov_b32 s1, 0x4f800000
	v_mul_f32_e64 v1, |v3|, s1
	v_cmp_lt_f32_e64 vcc, |v3|, s0
	v_cndmask_b32_e64 v1, |v3|, v1, vcc
	v_sqrt_f32_e32 v3, v1
	v_mul_f32_e32 v4, 0.5, v4
	v_mul_f32_e32 v2, v2, v4
	v_add_u32_e32 v4, -1, v3
	v_fma_f32 v5, -v4, v3, v1
	v_cmp_ge_f32_e64 s[0:1], 0, v5
	v_add_u32_e32 v5, 1, v3
	v_cndmask_b32_e64 v4, v3, v4, s[0:1]
	v_fma_f32 v3, -v5, v3, v1
	v_cmp_lt_f32_e64 s[0:1], 0, v3
	v_cndmask_b32_e64 v3, v4, v5, s[0:1]
	v_mul_f32_e32 v4, 0x37800000, v3
	v_cndmask_b32_e32 v3, v3, v4, vcc
	v_mov_b32_e32 v4, 0x260
	v_cmp_class_f32_e32 vcc, v1, v4
	v_cndmask_b32_e32 v1, v3, v1, vcc
	v_div_scale_f32 v3, s[0:1], v1, v1, v2
	v_div_scale_f32 v4, vcc, v2, v1, v2
	v_rcp_f32_e32 v5, v3
	v_fma_f32 v6, -v3, v5, 1.0
	v_fmac_f32_e32 v5, v6, v5
	v_mul_f32_e32 v6, v4, v5
	v_fma_f32 v7, -v3, v6, v4
	v_fmac_f32_e32 v6, v7, v5
	v_fma_f32 v3, -v3, v6, v4
	v_div_fmas_f32 v3, v3, v5, v6
                                        ; implicit-def: $vgpr4
	v_div_fixup_f32 v1, v3, v1, v2
                                        ; implicit-def: $vgpr3
                                        ; implicit-def: $vgpr2
.LBB19_34:
	s_andn2_saveexec_b64 s[10:11], s[10:11]
	s_cbranch_execz .LBB19_36
; %bb.35:
	s_mov_b32 s0, 0xf800000
	s_mov_b32 s1, 0x4f800000
	v_mul_f32_e64 v1, |v3|, s1
	v_cmp_lt_f32_e64 vcc, |v3|, s0
	v_cndmask_b32_e64 v1, |v3|, v1, vcc
	v_sqrt_f32_e32 v3, v1
	v_add_u32_e32 v5, -1, v3
	v_fma_f32 v6, -v5, v3, v1
	v_cmp_ge_f32_e64 s[0:1], 0, v6
	v_add_u32_e32 v6, 1, v3
	v_cndmask_b32_e64 v5, v3, v5, s[0:1]
	v_fma_f32 v3, -v6, v3, v1
	v_cmp_lt_f32_e64 s[0:1], 0, v3
	v_cndmask_b32_e64 v3, v5, v6, s[0:1]
	v_mul_f32_e32 v5, 0x37800000, v3
	v_cndmask_b32_e32 v3, v3, v5, vcc
	v_mov_b32_e32 v5, 0x260
	v_cmp_class_f32_e32 vcc, v1, v5
	v_cndmask_b32_e32 v1, v3, v1, vcc
	v_mul_f32_e32 v3, -0.5, v4
	v_mul_f32_e32 v2, v2, v3
	v_div_scale_f32 v3, s[0:1], v1, v1, v2
	v_div_scale_f32 v4, vcc, v2, v1, v2
	v_rcp_f32_e32 v5, v3
	v_fma_f32 v6, -v3, v5, 1.0
	v_fmac_f32_e32 v5, v6, v5
	v_mul_f32_e32 v6, v4, v5
	v_fma_f32 v7, -v3, v6, v4
	v_fmac_f32_e32 v6, v7, v5
	v_fma_f32 v3, -v3, v6, v4
	v_div_fmas_f32 v3, v3, v5, v6
	v_div_fixup_f32 v1, v3, v1, v2
.LBB19_36:
	s_or_b64 exec, exec, s[10:11]
.LBB19_37:
	s_or_b64 exec, exec, s[8:9]
	v_mov_b32_e32 v2, s25
	s_and_b32 s14, s73, 0xff
	v_add_co_u32_e32 v3, vcc, s24, v0
	s_cmp_lt_i32 s14, 11
	v_addc_co_u32_e32 v4, vcc, 0, v2, vcc
	s_cbranch_scc1 .LBB19_45
; %bb.38:
	s_and_b32 s15, 0xffff, s14
	s_cmp_gt_i32 s15, 25
	s_cbranch_scc0 .LBB19_48
; %bb.39:
	s_cmp_gt_i32 s15, 28
	s_cbranch_scc0 .LBB19_50
; %bb.40:
	s_cmp_gt_i32 s15, 43
	s_cbranch_scc0 .LBB19_52
; %bb.41:
	s_cmp_gt_i32 s15, 45
	s_cbranch_scc0 .LBB19_58
; %bb.42:
	s_mov_b64 s[10:11], 0
	s_mov_b64 s[0:1], -1
	s_cmp_eq_u32 s15, 46
	s_mov_b64 s[8:9], 0
	s_cbranch_scc0 .LBB19_59
; %bb.43:
	v_bfe_u32 v0, v1, 16, 1
	s_movk_i32 s0, 0x7fff
	v_add3_u32 v0, v1, v0, s0
	v_cmp_o_f32_e32 vcc, v1, v1
	v_mov_b32_e32 v2, 0x7fc0
	v_cndmask_b32_sdwa v0, v2, v0, vcc dst_sel:DWORD dst_unused:UNUSED_PAD src0_sel:DWORD src1_sel:WORD_1
	global_store_dword v[3:4], v0, off
	s_mov_b64 s[8:9], -1
	s_mov_b64 s[0:1], 0
	s_branch .LBB19_59
.LBB19_44:
	s_mov_b64 s[2:3], 0
	s_mov_b64 s[0:1], 0
                                        ; implicit-def: $vgpr3
	s_cbranch_execnz .LBB19_193
	s_branch .LBB19_227
.LBB19_45:
	s_mov_b64 s[0:1], 0
	s_mov_b64 s[8:9], 0
	s_cbranch_execnz .LBB19_128
.LBB19_46:
	s_andn2_b64 vcc, exec, s[8:9]
	s_cbranch_vccnz .LBB19_276
	s_branch .LBB19_166
.LBB19_47:
	s_mov_b64 s[8:9], -1
	s_mov_b64 s[2:3], 0
	s_mov_b64 s[0:1], 0
                                        ; implicit-def: $vgpr3
	s_branch .LBB19_174
.LBB19_48:
	s_mov_b64 s[10:11], -1
	s_mov_b64 s[0:1], 0
	s_mov_b64 s[8:9], 0
	s_branch .LBB19_86
.LBB19_49:
	s_mov_b64 s[8:9], -1
	s_mov_b64 s[2:3], 0
	s_mov_b64 s[0:1], 0
                                        ; implicit-def: $vgpr3
	s_branch .LBB19_169
.LBB19_50:
	s_mov_b64 s[10:11], -1
	s_mov_b64 s[0:1], 0
	s_mov_b64 s[8:9], 0
	s_branch .LBB19_69
.LBB19_51:
	s_mov_b64 s[8:9], -1
	s_mov_b64 s[2:3], 0
	s_branch .LBB19_54
.LBB19_52:
	s_mov_b64 s[10:11], -1
	s_mov_b64 s[0:1], 0
	s_mov_b64 s[8:9], 0
	s_branch .LBB19_65
.LBB19_53:
	s_mov_b64 s[2:3], -1
.LBB19_54:
	s_mov_b64 s[0:1], 0
                                        ; implicit-def: $vgpr3
.LBB19_55:
	s_and_b64 vcc, exec, s[8:9]
	s_cbranch_vccz .LBB19_168
; %bb.56:
	s_cmp_eq_u32 s12, 44
	s_cbranch_scc0 .LBB19_167
; %bb.57:
	global_load_ubyte v3, v[1:2], off
	s_movk_i32 s2, 0xff
	v_mov_b32_e32 v4, 0x7f800001
	v_mov_b32_e32 v5, 0x400000
	s_mov_b64 s[0:1], -1
	s_waitcnt vmcnt(0)
	v_lshlrev_b32_e32 v6, 23, v3
	v_cmp_ne_u32_e32 vcc, s2, v3
	v_cndmask_b32_e32 v4, v4, v6, vcc
	v_cmp_ne_u32_e32 vcc, 0, v3
	v_cndmask_b32_e32 v3, v5, v4, vcc
	s_mov_b64 s[2:3], 0
	s_branch .LBB19_168
.LBB19_58:
	s_mov_b64 s[10:11], -1
	s_mov_b64 s[0:1], 0
	s_mov_b64 s[8:9], 0
.LBB19_59:
	s_and_b64 vcc, exec, s[10:11]
	s_cbranch_vccz .LBB19_64
; %bb.60:
	s_cmp_eq_u32 s15, 44
	s_mov_b64 s[0:1], -1
	s_cbranch_scc0 .LBB19_64
; %bb.61:
	v_bfe_u32 v0, v1, 23, 8
	s_movk_i32 s0, 0xff
	v_cmp_ne_u32_e32 vcc, s0, v0
	v_mov_b32_e32 v2, 0xff
	s_and_saveexec_b64 s[8:9], vcc
; %bb.62:
	s_mov_b32 s0, 0x3fffff
	v_and_b32_e32 v5, 0x400000, v1
	v_and_or_b32 v0, v1, s0, v0
	v_cmp_ne_u32_e32 vcc, 0, v5
	v_cmp_ne_u32_e64 s[0:1], 0, v0
	s_and_b64 s[0:1], vcc, s[0:1]
	v_lshrrev_b32_e32 v2, 23, v1
	v_cndmask_b32_e64 v0, 0, 1, s[0:1]
	v_add_u32_e32 v2, v2, v0
; %bb.63:
	s_or_b64 exec, exec, s[8:9]
	s_mov_b64 s[8:9], -1
	s_mov_b64 s[0:1], 0
	global_store_byte v[3:4], v2, off
.LBB19_64:
	s_mov_b64 s[10:11], 0
.LBB19_65:
	s_and_b64 vcc, exec, s[10:11]
	s_cbranch_vccz .LBB19_68
; %bb.66:
	s_cmp_eq_u32 s15, 29
	s_mov_b64 s[0:1], -1
	s_cbranch_scc0 .LBB19_68
; %bb.67:
	v_trunc_f32_e32 v0, v1
	v_mul_f32_e32 v2, 0x2f800000, v0
	v_floor_f32_e32 v2, v2
	v_fmac_f32_e32 v0, 0xcf800000, v2
	v_cvt_u32_f32_e32 v6, v2
	v_cvt_u32_f32_e32 v5, v0
	s_mov_b64 s[8:9], -1
	s_mov_b64 s[0:1], 0
	s_mov_b64 s[10:11], 0
	global_store_dwordx2 v[3:4], v[5:6], off
	s_branch .LBB19_69
.LBB19_68:
	s_mov_b64 s[10:11], 0
.LBB19_69:
	s_and_b64 vcc, exec, s[10:11]
	s_cbranch_vccz .LBB19_85
; %bb.70:
	s_cmp_lt_i32 s15, 27
	s_mov_b64 s[8:9], -1
	s_cbranch_scc1 .LBB19_76
; %bb.71:
	v_cvt_u32_f32_e32 v0, v1
	s_cmp_gt_i32 s15, 27
	s_cbranch_scc0 .LBB19_73
; %bb.72:
	s_mov_b64 s[8:9], 0
	global_store_dword v[3:4], v0, off
.LBB19_73:
	s_andn2_b64 vcc, exec, s[8:9]
	s_cbranch_vccnz .LBB19_75
; %bb.74:
	global_store_short v[3:4], v0, off
.LBB19_75:
	s_mov_b64 s[8:9], 0
.LBB19_76:
	s_andn2_b64 vcc, exec, s[8:9]
	s_cbranch_vccnz .LBB19_84
; %bb.77:
	v_and_b32_e32 v0, 0x7fffffff, v1
	s_mov_b32 s8, 0x43800000
	v_cmp_gt_u32_e32 vcc, s8, v0
	v_mov_b32_e32 v2, 0x80
	s_and_saveexec_b64 s[8:9], vcc
	s_cbranch_execz .LBB19_83
; %bb.78:
	s_mov_b32 s10, 0x3bffffff
	v_cmp_lt_u32_e32 vcc, s10, v0
	s_mov_b64 s[10:11], 0
                                        ; implicit-def: $vgpr0
	s_and_saveexec_b64 s[12:13], vcc
	s_xor_b64 s[12:13], exec, s[12:13]
	s_cbranch_execz .LBB19_331
; %bb.79:
	v_bfe_u32 v0, v1, 20, 1
	s_mov_b32 s16, 0x487ffff
	v_add3_u32 v0, v1, v0, s16
	s_mov_b64 s[10:11], exec
	v_lshrrev_b32_e32 v0, 20, v0
	s_andn2_saveexec_b64 s[12:13], s[12:13]
	s_cbranch_execnz .LBB19_332
.LBB19_80:
	s_or_b64 exec, exec, s[12:13]
	v_mov_b32_e32 v2, 0
	s_and_saveexec_b64 s[12:13], s[10:11]
.LBB19_81:
	v_lshrrev_b32_e32 v2, 24, v1
	s_movk_i32 s10, 0x80
	v_and_or_b32 v2, v2, s10, v0
.LBB19_82:
	s_or_b64 exec, exec, s[12:13]
.LBB19_83:
	s_or_b64 exec, exec, s[8:9]
	global_store_byte v[3:4], v2, off
.LBB19_84:
	s_mov_b64 s[8:9], -1
.LBB19_85:
	s_mov_b64 s[10:11], 0
.LBB19_86:
	s_and_b64 vcc, exec, s[10:11]
	s_cbranch_vccz .LBB19_127
; %bb.87:
	s_cmp_gt_i32 s15, 22
	s_mov_b64 s[10:11], -1
	s_cbranch_scc0 .LBB19_119
; %bb.88:
	s_cmp_lt_i32 s15, 24
	s_mov_b64 s[8:9], -1
	s_cbranch_scc1 .LBB19_108
; %bb.89:
	s_cmp_gt_i32 s15, 24
	s_cbranch_scc0 .LBB19_97
; %bb.90:
	v_and_b32_e32 v0, 0x7fffffff, v1
	s_mov_b32 s8, 0x47800000
	v_cmp_gt_u32_e32 vcc, s8, v0
	v_mov_b32_e32 v2, 0x80
	s_and_saveexec_b64 s[8:9], vcc
	s_cbranch_execz .LBB19_96
; %bb.91:
	s_mov_b32 s10, 0x37ffffff
	v_cmp_lt_u32_e32 vcc, s10, v0
	s_mov_b64 s[10:11], 0
                                        ; implicit-def: $vgpr0
	s_and_saveexec_b64 s[12:13], vcc
	s_xor_b64 s[12:13], exec, s[12:13]
	s_cbranch_execz .LBB19_335
; %bb.92:
	v_bfe_u32 v0, v1, 21, 1
	s_mov_b32 s16, 0x88fffff
	v_add3_u32 v0, v1, v0, s16
	s_mov_b64 s[10:11], exec
	v_lshrrev_b32_e32 v0, 21, v0
	s_andn2_saveexec_b64 s[12:13], s[12:13]
	s_cbranch_execnz .LBB19_336
.LBB19_93:
	s_or_b64 exec, exec, s[12:13]
	v_mov_b32_e32 v2, 0
	s_and_saveexec_b64 s[12:13], s[10:11]
.LBB19_94:
	v_lshrrev_b32_e32 v2, 24, v1
	s_movk_i32 s10, 0x80
	v_and_or_b32 v2, v2, s10, v0
.LBB19_95:
	s_or_b64 exec, exec, s[12:13]
.LBB19_96:
	s_or_b64 exec, exec, s[8:9]
	s_mov_b64 s[8:9], 0
	global_store_byte v[3:4], v2, off
.LBB19_97:
	s_and_b64 vcc, exec, s[8:9]
	s_cbranch_vccz .LBB19_107
; %bb.98:
	v_and_b32_e32 v2, 0x7fffffff, v1
	s_mov_b32 s8, 0x43f00000
	v_cmp_gt_u32_e32 vcc, s8, v2
                                        ; implicit-def: $vgpr0
	s_and_saveexec_b64 s[8:9], vcc
	s_xor_b64 s[8:9], exec, s[8:9]
	s_cbranch_execz .LBB19_104
; %bb.99:
	s_mov_b32 s10, 0x3c7fffff
	v_cmp_lt_u32_e32 vcc, s10, v2
                                        ; implicit-def: $vgpr0
	s_and_saveexec_b64 s[10:11], vcc
	s_xor_b64 s[10:11], exec, s[10:11]
; %bb.100:
	v_bfe_u32 v0, v1, 20, 1
	s_mov_b32 s12, 0x407ffff
	v_add3_u32 v0, v1, v0, s12
	v_lshrrev_b32_e32 v2, 20, v0
	v_and_b32_e32 v0, 0xff00000, v0
	s_mov_b32 s12, 0x7f00000
	v_mov_b32_e32 v5, 0x7e
	v_cmp_ne_u32_e32 vcc, s12, v0
	v_cndmask_b32_e32 v0, v5, v2, vcc
; %bb.101:
	s_andn2_saveexec_b64 s[10:11], s[10:11]
; %bb.102:
	s_mov_b32 s12, 0x46800000
	v_add_f32_e64 v0, |v1|, s12
; %bb.103:
	s_or_b64 exec, exec, s[10:11]
                                        ; implicit-def: $vgpr2
.LBB19_104:
	s_andn2_saveexec_b64 s[8:9], s[8:9]
; %bb.105:
	s_mov_b32 s10, 0x7f800000
	v_mov_b32_e32 v0, 0x7e
	v_mov_b32_e32 v5, 0x7f
	v_cmp_lt_u32_e32 vcc, s10, v2
	v_cndmask_b32_e32 v0, v0, v5, vcc
; %bb.106:
	s_or_b64 exec, exec, s[8:9]
	v_lshrrev_b32_e32 v2, 24, v1
	s_movk_i32 s8, 0x80
	v_and_or_b32 v0, v2, s8, v0
	global_store_byte v[3:4], v0, off
.LBB19_107:
	s_mov_b64 s[8:9], 0
.LBB19_108:
	s_andn2_b64 vcc, exec, s[8:9]
	s_cbranch_vccnz .LBB19_118
; %bb.109:
	v_and_b32_e32 v2, 0x7fffffff, v1
	s_mov_b32 s8, 0x47800000
	v_cmp_gt_u32_e32 vcc, s8, v2
                                        ; implicit-def: $vgpr0
	s_and_saveexec_b64 s[8:9], vcc
	s_xor_b64 s[8:9], exec, s[8:9]
	s_cbranch_execz .LBB19_115
; %bb.110:
	s_mov_b32 s10, 0x387fffff
	v_cmp_lt_u32_e32 vcc, s10, v2
                                        ; implicit-def: $vgpr0
	s_and_saveexec_b64 s[10:11], vcc
	s_xor_b64 s[10:11], exec, s[10:11]
; %bb.111:
	v_bfe_u32 v0, v1, 21, 1
	s_mov_b32 s12, 0x80fffff
	v_add3_u32 v0, v1, v0, s12
	v_lshrrev_b32_e32 v0, 21, v0
; %bb.112:
	s_andn2_saveexec_b64 s[10:11], s[10:11]
; %bb.113:
	s_mov_b32 s12, 0x43000000
	v_add_f32_e64 v0, |v1|, s12
; %bb.114:
	s_or_b64 exec, exec, s[10:11]
                                        ; implicit-def: $vgpr2
.LBB19_115:
	s_andn2_saveexec_b64 s[8:9], s[8:9]
; %bb.116:
	s_mov_b32 s10, 0x7f800000
	v_mov_b32_e32 v0, 0x7c
	v_mov_b32_e32 v5, 0x7f
	v_cmp_lt_u32_e32 vcc, s10, v2
	v_cndmask_b32_e32 v0, v0, v5, vcc
; %bb.117:
	s_or_b64 exec, exec, s[8:9]
	v_lshrrev_b32_e32 v2, 24, v1
	s_movk_i32 s8, 0x80
	v_and_or_b32 v0, v2, s8, v0
	global_store_byte v[3:4], v0, off
.LBB19_118:
	s_mov_b64 s[10:11], 0
	s_mov_b64 s[8:9], -1
.LBB19_119:
	s_andn2_b64 vcc, exec, s[10:11]
	s_cbranch_vccnz .LBB19_127
; %bb.120:
	s_cmp_gt_i32 s15, 14
	s_mov_b64 s[10:11], -1
	s_cbranch_scc0 .LBB19_124
; %bb.121:
	s_cmp_eq_u32 s15, 15
	s_mov_b64 s[0:1], -1
	s_cbranch_scc0 .LBB19_123
; %bb.122:
	v_bfe_u32 v0, v1, 16, 1
	s_movk_i32 s0, 0x7fff
	v_add3_u32 v0, v1, v0, s0
	v_cmp_o_f32_e32 vcc, v1, v1
	v_mov_b32_e32 v2, 0x7fc0
	v_cndmask_b32_sdwa v0, v2, v0, vcc dst_sel:DWORD dst_unused:UNUSED_PAD src0_sel:DWORD src1_sel:WORD_1
	global_store_short v[3:4], v0, off
	s_mov_b64 s[8:9], -1
	s_mov_b64 s[0:1], 0
.LBB19_123:
	s_mov_b64 s[10:11], 0
.LBB19_124:
	s_and_b64 vcc, exec, s[10:11]
	s_cbranch_vccz .LBB19_127
; %bb.125:
	s_cmp_eq_u32 s15, 11
	s_mov_b64 s[0:1], -1
	s_cbranch_scc0 .LBB19_127
; %bb.126:
	v_cmp_neq_f32_e32 vcc, 0, v1
	v_cndmask_b32_e64 v0, 0, 1, vcc
	s_mov_b64 s[8:9], -1
	s_mov_b64 s[0:1], 0
	global_store_byte v[3:4], v0, off
.LBB19_127:
	s_branch .LBB19_46
.LBB19_128:
	s_and_b32 s10, 0xffff, s14
	s_cmp_lt_i32 s10, 5
	s_mov_b64 s[8:9], -1
	s_cbranch_scc1 .LBB19_149
; %bb.129:
	s_cmp_lt_i32 s10, 8
	s_cbranch_scc1 .LBB19_139
; %bb.130:
	s_cmp_lt_i32 s10, 9
	s_cbranch_scc1 .LBB19_136
; %bb.131:
	s_cmp_gt_i32 s10, 9
	s_cbranch_scc0 .LBB19_133
; %bb.132:
	v_cvt_f64_f32_e32 v[9:10], v1
	v_mov_b32_e32 v11, 0
	v_mov_b32_e32 v12, v11
	s_mov_b64 s[8:9], 0
	global_store_dwordx4 v[3:4], v[9:12], off
.LBB19_133:
	s_andn2_b64 vcc, exec, s[8:9]
	s_cbranch_vccnz .LBB19_135
; %bb.134:
	v_mov_b32_e32 v2, 0
	global_store_dwordx2 v[3:4], v[1:2], off
.LBB19_135:
	s_mov_b64 s[8:9], 0
.LBB19_136:
	s_andn2_b64 vcc, exec, s[8:9]
	s_cbranch_vccnz .LBB19_138
; %bb.137:
	v_cvt_f16_f32_e32 v0, v1
	global_store_dword v[3:4], v0, off
.LBB19_138:
	s_mov_b64 s[8:9], 0
.LBB19_139:
	s_andn2_b64 vcc, exec, s[8:9]
	s_cbranch_vccnz .LBB19_148
; %bb.140:
	s_cmp_lt_i32 s10, 6
	s_mov_b64 s[8:9], -1
	s_cbranch_scc1 .LBB19_146
; %bb.141:
	s_cmp_gt_i32 s10, 6
	s_cbranch_scc0 .LBB19_143
; %bb.142:
	v_cvt_f64_f32_e32 v[5:6], v1
	s_mov_b64 s[8:9], 0
	global_store_dwordx2 v[3:4], v[5:6], off
.LBB19_143:
	s_andn2_b64 vcc, exec, s[8:9]
	s_cbranch_vccnz .LBB19_145
; %bb.144:
	global_store_dword v[3:4], v1, off
.LBB19_145:
	s_mov_b64 s[8:9], 0
.LBB19_146:
	s_andn2_b64 vcc, exec, s[8:9]
	s_cbranch_vccnz .LBB19_148
; %bb.147:
	v_cvt_f16_f32_e32 v0, v1
	global_store_short v[3:4], v0, off
.LBB19_148:
	s_mov_b64 s[8:9], 0
.LBB19_149:
	s_andn2_b64 vcc, exec, s[8:9]
	s_cbranch_vccnz .LBB19_165
; %bb.150:
	s_cmp_lt_i32 s10, 2
	s_mov_b64 s[8:9], -1
	s_cbranch_scc1 .LBB19_160
; %bb.151:
	s_cmp_lt_i32 s10, 3
	s_cbranch_scc1 .LBB19_157
; %bb.152:
	s_cmp_gt_i32 s10, 3
	s_cbranch_scc0 .LBB19_154
; %bb.153:
	v_trunc_f32_e32 v0, v1
	s_mov_b32 s8, 0x2f800000
	v_mul_f32_e64 v2, |v0|, s8
	v_floor_f32_e32 v2, v2
	s_mov_b32 s8, 0xcf800000
	v_cvt_u32_f32_e32 v5, v2
	v_fma_f32 v2, v2, s8, |v0|
	v_cvt_u32_f32_e32 v2, v2
	v_ashrrev_i32_e32 v0, 31, v0
	v_xor_b32_e32 v6, v5, v0
	s_mov_b64 s[8:9], 0
	v_xor_b32_e32 v2, v2, v0
	v_sub_co_u32_e32 v5, vcc, v2, v0
	v_subb_co_u32_e32 v6, vcc, v6, v0, vcc
	global_store_dwordx2 v[3:4], v[5:6], off
.LBB19_154:
	s_andn2_b64 vcc, exec, s[8:9]
	s_cbranch_vccnz .LBB19_156
; %bb.155:
	v_cvt_i32_f32_e32 v0, v1
	global_store_dword v[3:4], v0, off
.LBB19_156:
	s_mov_b64 s[8:9], 0
.LBB19_157:
	s_andn2_b64 vcc, exec, s[8:9]
	s_cbranch_vccnz .LBB19_159
; %bb.158:
	v_cvt_i32_f32_e32 v0, v1
	global_store_short v[3:4], v0, off
.LBB19_159:
	s_mov_b64 s[8:9], 0
.LBB19_160:
	s_andn2_b64 vcc, exec, s[8:9]
	s_cbranch_vccnz .LBB19_165
; %bb.161:
	s_cmp_gt_i32 s10, 0
	s_mov_b64 s[8:9], -1
	s_cbranch_scc0 .LBB19_163
; %bb.162:
	v_cvt_i32_f32_e32 v0, v1
	s_mov_b64 s[8:9], 0
	global_store_byte v[3:4], v0, off
.LBB19_163:
	s_andn2_b64 vcc, exec, s[8:9]
	s_cbranch_vccnz .LBB19_165
; %bb.164:
	v_trunc_f32_e32 v0, v1
	s_mov_b32 s8, 0x2f800000
	v_mul_f32_e64 v1, |v0|, s8
	v_floor_f32_e32 v1, v1
	s_mov_b32 s8, 0xcf800000
	v_fma_f32 v1, v1, s8, |v0|
	v_cvt_u32_f32_e32 v1, v1
	v_ashrrev_i32_e32 v0, 31, v0
	v_xor_b32_e32 v1, v1, v0
	v_sub_u32_e32 v0, v1, v0
	global_store_byte v[3:4], v0, off
.LBB19_165:
.LBB19_166:
	v_add_u32_e32 v8, 0x80, v8
	s_mov_b64 s[8:9], -1
	s_branch .LBB19_277
.LBB19_167:
	s_mov_b64 s[2:3], -1
                                        ; implicit-def: $vgpr3
.LBB19_168:
	s_mov_b64 s[8:9], 0
.LBB19_169:
	s_and_b64 vcc, exec, s[8:9]
	s_cbranch_vccz .LBB19_173
; %bb.170:
	s_cmp_eq_u32 s12, 29
	s_cbranch_scc0 .LBB19_172
; %bb.171:
	global_load_dwordx2 v[3:4], v[1:2], off
	s_mov_b64 s[0:1], -1
	s_mov_b64 s[2:3], 0
	s_mov_b64 s[8:9], 0
	s_waitcnt vmcnt(0)
	v_ffbh_u32_e32 v5, v4
	v_min_u32_e32 v5, 32, v5
	v_lshlrev_b64 v[3:4], v5, v[3:4]
	v_min_u32_e32 v3, 1, v3
	v_or_b32_e32 v3, v4, v3
	v_cvt_f32_u32_e32 v3, v3
	v_sub_u32_e32 v4, 32, v5
	v_ldexp_f32 v3, v3, v4
	s_branch .LBB19_174
.LBB19_172:
	s_mov_b64 s[2:3], -1
                                        ; implicit-def: $vgpr3
.LBB19_173:
	s_mov_b64 s[8:9], 0
.LBB19_174:
	s_and_b64 vcc, exec, s[8:9]
	s_cbranch_vccz .LBB19_192
; %bb.175:
	s_cmp_lt_i32 s12, 27
	s_cbranch_scc1 .LBB19_178
; %bb.176:
	s_cmp_gt_i32 s12, 27
	s_cbranch_scc0 .LBB19_179
; %bb.177:
	global_load_dword v3, v[1:2], off
	s_mov_b64 s[0:1], 0
	s_waitcnt vmcnt(0)
	v_cvt_f32_u32_e32 v3, v3
	s_branch .LBB19_180
.LBB19_178:
	s_mov_b64 s[0:1], -1
                                        ; implicit-def: $vgpr3
	s_branch .LBB19_183
.LBB19_179:
	s_mov_b64 s[0:1], -1
                                        ; implicit-def: $vgpr3
.LBB19_180:
	s_andn2_b64 vcc, exec, s[0:1]
	s_cbranch_vccnz .LBB19_182
; %bb.181:
	global_load_ushort v3, v[1:2], off
	s_waitcnt vmcnt(0)
	v_cvt_f32_u32_e32 v3, v3
.LBB19_182:
	s_mov_b64 s[0:1], 0
.LBB19_183:
	s_andn2_b64 vcc, exec, s[0:1]
	s_cbranch_vccnz .LBB19_191
; %bb.184:
	global_load_ubyte v4, v[1:2], off
	s_movk_i32 s0, 0x7f
	s_waitcnt vmcnt(0)
	v_cmp_lt_i16_e32 vcc, s0, v4
	s_mov_b64 s[0:1], 0
	s_and_saveexec_b64 s[8:9], vcc
	s_xor_b64 s[8:9], exec, s[8:9]
	s_cbranch_execz .LBB19_204
; %bb.185:
	s_movk_i32 s0, 0x80
	v_cmp_eq_u16_e32 vcc, s0, v4
	s_mov_b64 s[0:1], -1
	s_and_saveexec_b64 s[10:11], vcc
; %bb.186:
	s_xor_b64 s[0:1], exec, -1
; %bb.187:
	s_or_b64 exec, exec, s[10:11]
	s_and_b64 s[0:1], s[0:1], exec
	s_or_saveexec_b64 s[8:9], s[8:9]
	v_mov_b32_e32 v3, 0x7f800001
	s_xor_b64 exec, exec, s[8:9]
	s_cbranch_execnz .LBB19_205
.LBB19_188:
	s_or_b64 exec, exec, s[8:9]
	s_and_saveexec_b64 s[8:9], s[0:1]
	s_cbranch_execz .LBB19_190
.LBB19_189:
	v_lshlrev_b32_e32 v3, 24, v4
	v_and_b32_e32 v4, 0xffff, v4
	v_and_b32_e32 v5, 7, v4
	v_ffbh_u32_e32 v7, v5
	v_min_u32_e32 v7, 32, v7
	v_subrev_u32_e32 v9, 28, v7
	v_bfe_u32 v6, v4, 3, 4
	v_lshlrev_b32_e32 v4, v9, v4
	v_sub_u32_e32 v7, 29, v7
	v_and_b32_e32 v4, 7, v4
	v_cmp_eq_u32_e32 vcc, 0, v6
	v_cndmask_b32_e32 v6, v6, v7, vcc
	v_cndmask_b32_e32 v4, v5, v4, vcc
	v_mov_b32_e32 v5, 0x3b800000
	v_lshlrev_b32_e32 v4, 20, v4
	v_and_b32_e32 v3, 0x80000000, v3
	v_lshl_add_u32 v5, v6, 23, v5
	v_or3_b32 v3, v3, v5, v4
.LBB19_190:
	s_or_b64 exec, exec, s[8:9]
.LBB19_191:
	s_mov_b64 s[0:1], -1
.LBB19_192:
	s_branch .LBB19_227
.LBB19_193:
	s_cmp_gt_i32 s12, 22
	s_cbranch_scc0 .LBB19_203
; %bb.194:
	s_cmp_lt_i32 s12, 24
	s_cbranch_scc1 .LBB19_206
; %bb.195:
	s_cmp_gt_i32 s12, 24
	s_cbranch_scc0 .LBB19_207
; %bb.196:
	global_load_ubyte v4, v[1:2], off
	s_movk_i32 s0, 0x7f
	s_waitcnt vmcnt(0)
	v_cmp_lt_i16_e32 vcc, s0, v4
	s_mov_b64 s[0:1], 0
	s_and_saveexec_b64 s[8:9], vcc
	s_xor_b64 s[8:9], exec, s[8:9]
	s_cbranch_execz .LBB19_219
; %bb.197:
	s_movk_i32 s0, 0x80
	v_cmp_eq_u16_e32 vcc, s0, v4
	s_mov_b64 s[0:1], -1
	s_and_saveexec_b64 s[10:11], vcc
; %bb.198:
	s_xor_b64 s[0:1], exec, -1
; %bb.199:
	s_or_b64 exec, exec, s[10:11]
	s_and_b64 s[0:1], s[0:1], exec
	s_or_saveexec_b64 s[8:9], s[8:9]
	v_mov_b32_e32 v3, 0x7f800001
	s_xor_b64 exec, exec, s[8:9]
	s_cbranch_execnz .LBB19_220
.LBB19_200:
	s_or_b64 exec, exec, s[8:9]
	s_and_saveexec_b64 s[8:9], s[0:1]
	s_cbranch_execz .LBB19_202
.LBB19_201:
	v_lshlrev_b32_e32 v3, 24, v4
	v_and_b32_e32 v4, 0xffff, v4
	v_and_b32_e32 v5, 3, v4
	v_ffbh_u32_e32 v7, v5
	v_min_u32_e32 v7, 32, v7
	v_subrev_u32_e32 v9, 29, v7
	v_bfe_u32 v6, v4, 2, 5
	v_lshlrev_b32_e32 v4, v9, v4
	v_sub_u32_e32 v7, 30, v7
	v_and_b32_e32 v4, 3, v4
	v_cmp_eq_u32_e32 vcc, 0, v6
	v_cndmask_b32_e32 v6, v6, v7, vcc
	v_cndmask_b32_e32 v4, v5, v4, vcc
	v_mov_b32_e32 v5, 0x37800000
	v_lshlrev_b32_e32 v4, 21, v4
	v_and_b32_e32 v3, 0x80000000, v3
	v_lshl_add_u32 v5, v6, 23, v5
	v_or3_b32 v3, v3, v5, v4
.LBB19_202:
	s_or_b64 exec, exec, s[8:9]
	s_mov_b64 s[0:1], 0
	s_branch .LBB19_208
.LBB19_203:
	s_mov_b64 s[8:9], -1
                                        ; implicit-def: $vgpr3
	s_branch .LBB19_214
.LBB19_204:
	s_or_saveexec_b64 s[8:9], s[8:9]
	v_mov_b32_e32 v3, 0x7f800001
	s_xor_b64 exec, exec, s[8:9]
	s_cbranch_execz .LBB19_188
.LBB19_205:
	v_cmp_ne_u16_e32 vcc, 0, v4
	s_andn2_b64 s[0:1], s[0:1], exec
	s_and_b64 s[10:11], vcc, exec
	v_mov_b32_e32 v3, 0
	s_or_b64 s[0:1], s[0:1], s[10:11]
	s_or_b64 exec, exec, s[8:9]
	s_and_saveexec_b64 s[8:9], s[0:1]
	s_cbranch_execnz .LBB19_189
	s_branch .LBB19_190
.LBB19_206:
	s_mov_b64 s[0:1], -1
                                        ; implicit-def: $vgpr3
	s_branch .LBB19_211
.LBB19_207:
	s_mov_b64 s[0:1], -1
                                        ; implicit-def: $vgpr3
.LBB19_208:
	s_and_b64 vcc, exec, s[0:1]
	s_cbranch_vccz .LBB19_210
; %bb.209:
	global_load_ubyte v3, v[1:2], off
	s_mov_b32 s0, 0x7f800000
	s_waitcnt vmcnt(0)
	v_lshlrev_b32_e32 v3, 24, v3
	v_and_b32_e32 v4, 0x7f000000, v3
	v_ffbh_u32_e32 v5, v4
	v_min_u32_e32 v5, 32, v5
	v_sub_u32_e64 v5, v5, 4 clamp
	v_lshlrev_b32_e32 v7, v5, v4
	v_lshlrev_b32_e32 v5, 23, v5
	v_lshrrev_b32_e32 v7, 4, v7
	v_add_u32_e32 v6, 0x1000000, v4
	v_sub_u32_e32 v5, v7, v5
	v_ashrrev_i32_e32 v6, 8, v6
	v_add_u32_e32 v5, 0x3c000000, v5
	v_and_or_b32 v5, v6, s0, v5
	v_cmp_ne_u32_e32 vcc, 0, v4
	v_cndmask_b32_e32 v4, 0, v5, vcc
	s_brev_b32 s0, 1
	v_and_or_b32 v3, v3, s0, v4
.LBB19_210:
	s_mov_b64 s[0:1], 0
.LBB19_211:
	s_andn2_b64 vcc, exec, s[0:1]
	s_cbranch_vccnz .LBB19_213
; %bb.212:
	global_load_ubyte v3, v[1:2], off
	s_movk_i32 s0, 0x7f00
	s_brev_b32 s1, 16
	s_waitcnt vmcnt(0)
	v_lshlrev_b16_e32 v4, 8, v3
	v_lshlrev_b32_e32 v3, 25, v3
	v_lshrrev_b32_e32 v5, 4, v3
	v_and_or_b32 v6, v4, s0, 0.5
	v_or_b32_e32 v5, 0x70000000, v5
	v_add_f32_e32 v6, -0.5, v6
	v_mul_f32_e32 v5, 0x7800000, v5
	v_cmp_gt_u32_e32 vcc, s1, v3
	v_bfe_i32 v4, v4, 0, 16
	v_cndmask_b32_e32 v3, v5, v6, vcc
	s_brev_b32 s0, 1
	v_and_or_b32 v3, v4, s0, v3
.LBB19_213:
	s_mov_b64 s[8:9], 0
	s_mov_b64 s[0:1], -1
.LBB19_214:
	s_andn2_b64 vcc, exec, s[8:9]
	s_cbranch_vccnz .LBB19_227
; %bb.215:
	s_cmp_gt_i32 s12, 14
	s_cbranch_scc0 .LBB19_218
; %bb.216:
	s_cmp_eq_u32 s12, 15
	s_cbranch_scc0 .LBB19_221
; %bb.217:
	global_load_ushort v3, v[1:2], off
	s_mov_b64 s[0:1], -1
	s_mov_b64 s[2:3], 0
	s_waitcnt vmcnt(0)
	v_lshlrev_b32_e32 v3, 16, v3
	s_branch .LBB19_222
.LBB19_218:
	s_mov_b64 s[8:9], -1
                                        ; implicit-def: $vgpr3
	s_branch .LBB19_223
.LBB19_219:
	s_or_saveexec_b64 s[8:9], s[8:9]
	v_mov_b32_e32 v3, 0x7f800001
	s_xor_b64 exec, exec, s[8:9]
	s_cbranch_execz .LBB19_200
.LBB19_220:
	v_cmp_ne_u16_e32 vcc, 0, v4
	s_andn2_b64 s[0:1], s[0:1], exec
	s_and_b64 s[10:11], vcc, exec
	v_mov_b32_e32 v3, 0
	s_or_b64 s[0:1], s[0:1], s[10:11]
	s_or_b64 exec, exec, s[8:9]
	s_and_saveexec_b64 s[8:9], s[0:1]
	s_cbranch_execnz .LBB19_201
	s_branch .LBB19_202
.LBB19_221:
	s_mov_b64 s[2:3], -1
                                        ; implicit-def: $vgpr3
.LBB19_222:
	s_mov_b64 s[8:9], 0
.LBB19_223:
	s_and_b64 vcc, exec, s[8:9]
	s_cbranch_vccz .LBB19_227
; %bb.224:
	s_cmp_eq_u32 s12, 11
	s_cbranch_scc0 .LBB19_226
; %bb.225:
	global_load_ubyte v3, v[1:2], off
	s_mov_b64 s[0:1], -1
	s_mov_b64 s[2:3], 0
	s_waitcnt vmcnt(0)
	v_cmp_ne_u16_e32 vcc, 0, v3
	v_cndmask_b32_e64 v3, 0, 1.0, vcc
	s_branch .LBB19_227
.LBB19_226:
	s_mov_b64 s[2:3], -1
                                        ; implicit-def: $vgpr3
.LBB19_227:
	s_branch .LBB19_24
.LBB19_228:
	s_cmp_lt_i32 s12, 5
	s_cbranch_scc1 .LBB19_233
; %bb.229:
	s_cmp_lt_i32 s12, 8
	s_cbranch_scc1 .LBB19_234
; %bb.230:
	;; [unrolled: 3-line block ×3, first 2 shown]
	s_cmp_gt_i32 s12, 9
	s_cbranch_scc0 .LBB19_236
; %bb.232:
	global_load_dwordx2 v[3:4], v[1:2], off
	s_mov_b64 s[0:1], 0
	s_waitcnt vmcnt(0)
	v_cvt_f32_f64_e32 v3, v[3:4]
	s_branch .LBB19_237
.LBB19_233:
                                        ; implicit-def: $vgpr3
	s_branch .LBB19_255
.LBB19_234:
	s_mov_b64 s[0:1], -1
                                        ; implicit-def: $vgpr3
	s_branch .LBB19_243
.LBB19_235:
	s_mov_b64 s[0:1], -1
                                        ; implicit-def: $vgpr3
	s_branch .LBB19_240
.LBB19_236:
	s_mov_b64 s[0:1], -1
                                        ; implicit-def: $vgpr3
.LBB19_237:
	s_andn2_b64 vcc, exec, s[0:1]
	s_cbranch_vccnz .LBB19_239
; %bb.238:
	global_load_dword v3, v[1:2], off
.LBB19_239:
	s_mov_b64 s[0:1], 0
.LBB19_240:
	s_andn2_b64 vcc, exec, s[0:1]
	s_cbranch_vccnz .LBB19_242
; %bb.241:
	global_load_dword v3, v[1:2], off
	s_waitcnt vmcnt(0)
	v_cvt_f32_f16_e32 v3, v3
.LBB19_242:
	s_mov_b64 s[0:1], 0
.LBB19_243:
	s_andn2_b64 vcc, exec, s[0:1]
	s_cbranch_vccnz .LBB19_254
; %bb.244:
	s_cmp_lt_i32 s12, 6
	s_cbranch_scc1 .LBB19_247
; %bb.245:
	s_cmp_gt_i32 s12, 6
	s_cbranch_scc0 .LBB19_248
; %bb.246:
	global_load_dwordx2 v[3:4], v[1:2], off
	s_mov_b64 s[0:1], 0
	s_waitcnt vmcnt(0)
	v_cvt_f32_f64_e32 v3, v[3:4]
	s_branch .LBB19_249
.LBB19_247:
	s_mov_b64 s[0:1], -1
                                        ; implicit-def: $vgpr3
	s_branch .LBB19_252
.LBB19_248:
	s_mov_b64 s[0:1], -1
                                        ; implicit-def: $vgpr3
.LBB19_249:
	s_andn2_b64 vcc, exec, s[0:1]
	s_cbranch_vccnz .LBB19_251
; %bb.250:
	global_load_dword v3, v[1:2], off
.LBB19_251:
	s_mov_b64 s[0:1], 0
.LBB19_252:
	s_andn2_b64 vcc, exec, s[0:1]
	s_cbranch_vccnz .LBB19_254
; %bb.253:
	global_load_ushort v3, v[1:2], off
	s_waitcnt vmcnt(0)
	v_cvt_f32_f16_e32 v3, v3
.LBB19_254:
	s_cbranch_execnz .LBB19_274
.LBB19_255:
	s_cmp_lt_i32 s12, 2
	s_cbranch_scc1 .LBB19_259
; %bb.256:
	s_cmp_lt_i32 s12, 3
	s_cbranch_scc1 .LBB19_260
; %bb.257:
	s_cmp_gt_i32 s12, 3
	s_cbranch_scc0 .LBB19_261
; %bb.258:
	global_load_dwordx2 v[3:4], v[1:2], off
	s_mov_b64 s[0:1], 0
	s_waitcnt vmcnt(0)
	v_xor_b32_e32 v6, v3, v4
	v_ffbh_i32_e32 v5, v4
	v_ashrrev_i32_e32 v6, 31, v6
	v_add_u32_e32 v5, -1, v5
	v_add_u32_e32 v6, 32, v6
	v_min_u32_e32 v5, v5, v6
	v_lshlrev_b64 v[3:4], v5, v[3:4]
	v_min_u32_e32 v3, 1, v3
	v_or_b32_e32 v3, v4, v3
	v_cvt_f32_i32_e32 v3, v3
	v_sub_u32_e32 v4, 32, v5
	v_ldexp_f32 v3, v3, v4
	s_branch .LBB19_262
.LBB19_259:
	s_mov_b64 s[0:1], -1
                                        ; implicit-def: $vgpr3
	s_branch .LBB19_268
.LBB19_260:
	s_mov_b64 s[0:1], -1
                                        ; implicit-def: $vgpr3
	s_branch .LBB19_265
.LBB19_261:
	s_mov_b64 s[0:1], -1
                                        ; implicit-def: $vgpr3
.LBB19_262:
	s_andn2_b64 vcc, exec, s[0:1]
	s_cbranch_vccnz .LBB19_264
; %bb.263:
	global_load_dword v3, v[1:2], off
	s_waitcnt vmcnt(0)
	v_cvt_f32_i32_e32 v3, v3
.LBB19_264:
	s_mov_b64 s[0:1], 0
.LBB19_265:
	s_andn2_b64 vcc, exec, s[0:1]
	s_cbranch_vccnz .LBB19_267
; %bb.266:
	global_load_sshort v3, v[1:2], off
	s_waitcnt vmcnt(0)
	v_cvt_f32_i32_e32 v3, v3
.LBB19_267:
	s_mov_b64 s[0:1], 0
.LBB19_268:
	s_andn2_b64 vcc, exec, s[0:1]
	s_cbranch_vccnz .LBB19_274
; %bb.269:
	s_cmp_gt_i32 s12, 0
	s_cbranch_scc0 .LBB19_271
; %bb.270:
	global_load_sbyte v3, v[1:2], off
	s_mov_b64 s[0:1], 0
	s_waitcnt vmcnt(0)
	v_cvt_f32_i32_e32 v3, v3
	s_branch .LBB19_272
.LBB19_271:
	s_mov_b64 s[0:1], -1
                                        ; implicit-def: $vgpr3
.LBB19_272:
	s_andn2_b64 vcc, exec, s[0:1]
	s_cbranch_vccnz .LBB19_274
; %bb.273:
	global_load_ubyte v1, v[1:2], off
	s_waitcnt vmcnt(0)
	v_cvt_f32_ubyte0_e32 v3, v1
.LBB19_274:
	s_branch .LBB19_25
.LBB19_275:
	s_mov_b64 s[0:1], 0
.LBB19_276:
	s_mov_b64 s[8:9], 0
                                        ; implicit-def: $vgpr8
.LBB19_277:
	s_and_b64 s[52:53], s[0:1], exec
	s_and_b64 s[54:55], s[2:3], exec
	s_orn2_b64 s[2:3], s[8:9], exec
.LBB19_278:
	s_or_b64 exec, exec, s[56:57]
	s_mov_b64 s[10:11], 0
	s_mov_b64 s[0:1], 0
                                        ; implicit-def: $vgpr1_vgpr2
                                        ; implicit-def: $vgpr0
                                        ; implicit-def: $vgpr5
	s_and_saveexec_b64 s[56:57], s[2:3]
	s_cbranch_execz .LBB19_285
; %bb.279:
	v_cmp_gt_i32_e32 vcc, s70, v8
	s_mov_b64 s[0:1], -1
	s_mov_b64 s[58:59], s[54:55]
	s_mov_b64 s[60:61], s[52:53]
	s_and_saveexec_b64 s[62:63], vcc
	s_cbranch_execz .LBB19_566
; %bb.280:
	s_andn2_b64 vcc, exec, s[40:41]
	s_cbranch_vccnz .LBB19_288
; %bb.281:
	s_andn2_b64 vcc, exec, s[50:51]
	s_cbranch_vccnz .LBB19_289
; %bb.282:
	s_add_i32 s65, s75, 1
	s_cmp_eq_u32 s72, 2
	s_cbranch_scc1 .LBB19_290
; %bb.283:
	s_and_b32 s64, s65, 28
	v_mov_b32_e32 v2, 0
	s_mov_b32 s66, 0
	s_mov_b64 s[58:59], s[34:35]
	s_mov_b64 s[60:61], s[48:49]
	v_mov_b32_e32 v0, 0
	v_mov_b32_e32 v1, v8
.LBB19_284:                             ; =>This Inner Loop Header: Depth=1
	s_load_dwordx8 s[16:23], s[58:59], 0x4
	s_load_dwordx4 s[0:3], s[58:59], 0x24
	s_load_dwordx8 s[8:15], s[60:61], 0x0
	s_add_u32 s58, s58, 48
	s_addc_u32 s59, s59, 0
	s_waitcnt vmcnt(0) lgkmcnt(0)
	v_mul_hi_u32 v3, s17, v1
	s_add_i32 s66, s66, 4
	s_add_u32 s60, s60, 32
	s_addc_u32 s61, s61, 0
	v_add_u32_e32 v3, v1, v3
	v_lshrrev_b32_e32 v3, s18, v3
	v_mul_lo_u32 v4, v3, s16
	v_mul_hi_u32 v5, s20, v3
	s_cmp_eq_u32 s64, s66
	v_sub_u32_e32 v1, v1, v4
	v_add_u32_e32 v4, v3, v5
	v_mul_lo_u32 v5, v1, s8
	v_mul_lo_u32 v6, v1, s9
	v_lshrrev_b32_e32 v1, s21, v4
	v_mul_lo_u32 v4, v1, s19
	v_mul_hi_u32 v7, s23, v1
	v_sub_u32_e32 v3, v3, v4
	v_add_u32_e32 v4, v1, v7
	v_lshrrev_b32_e32 v4, s0, v4
	v_mul_hi_u32 v9, s2, v4
	v_mul_lo_u32 v10, v4, s22
	v_mul_lo_u32 v7, v3, s10
	;; [unrolled: 1-line block ×3, first 2 shown]
	v_sub_u32_e32 v10, v1, v10
	v_add_u32_e32 v1, v4, v9
	v_lshrrev_b32_e32 v1, s3, v1
	v_mul_lo_u32 v9, v1, s1
	v_mul_lo_u32 v11, v10, s12
	;; [unrolled: 1-line block ×3, first 2 shown]
	v_add3_u32 v0, v5, v0, v7
	v_sub_u32_e32 v4, v4, v9
	v_mul_lo_u32 v9, v4, s14
	v_mul_lo_u32 v4, v4, s15
	v_add3_u32 v2, v6, v2, v3
	v_add3_u32 v0, v11, v0, v9
	;; [unrolled: 1-line block ×3, first 2 shown]
	s_cbranch_scc0 .LBB19_284
	s_branch .LBB19_291
.LBB19_285:
	s_or_b64 exec, exec, s[56:57]
	s_mov_b64 s[2:3], 0
	s_and_saveexec_b64 s[8:9], s[54:55]
	s_cbranch_execnz .LBB19_954
.LBB19_286:
	s_or_b64 exec, exec, s[8:9]
	s_and_saveexec_b64 s[8:9], s[60:61]
	s_xor_b64 s[8:9], exec, s[8:9]
	s_cbranch_execz .LBB19_955
.LBB19_287:
	global_load_ubyte v3, v[1:2], off
	s_or_b64 s[0:1], s[0:1], exec
	s_waitcnt vmcnt(0)
	v_cmp_ne_u16_e32 vcc, 0, v3
	v_cndmask_b32_e64 v5, 0, 1.0, vcc
	s_or_b64 exec, exec, s[8:9]
	s_and_saveexec_b64 s[8:9], s[10:11]
	s_cbranch_execz .LBB19_1001
	s_branch .LBB19_956
.LBB19_288:
                                        ; implicit-def: $vgpr0
                                        ; implicit-def: $vgpr2
	s_andn2_b64 vcc, exec, s[0:1]
	s_cbranch_vccz .LBB19_295
	s_branch .LBB19_297
.LBB19_289:
	v_mov_b32_e32 v0, 0
	v_mov_b32_e32 v2, 0
	s_branch .LBB19_294
.LBB19_290:
	s_mov_b32 s64, 0
	v_mov_b32_e32 v0, 0
	v_mov_b32_e32 v2, 0
	;; [unrolled: 1-line block ×3, first 2 shown]
.LBB19_291:
	s_and_b32 s8, s65, 3
	s_cmp_eq_u32 s8, 0
	s_cbranch_scc1 .LBB19_294
; %bb.292:
	s_lshl_b32 s0, s64, 3
	s_add_u32 s0, s34, s0
	s_addc_u32 s1, s35, 0
	s_add_u32 s0, s0, 0xc4
	s_addc_u32 s1, s1, 0
	s_mul_i32 s2, s64, 12
	s_add_u32 s2, s34, s2
	s_addc_u32 s3, s35, 0
.LBB19_293:                             ; =>This Inner Loop Header: Depth=1
	s_load_dwordx2 s[10:11], s[2:3], 0x4
	s_load_dword s9, s[2:3], 0xc
	s_load_dwordx2 s[12:13], s[0:1], 0x0
	s_add_u32 s2, s2, 12
	s_addc_u32 s3, s3, 0
	s_waitcnt vmcnt(0) lgkmcnt(0)
	v_mul_hi_u32 v3, s11, v1
	s_add_u32 s0, s0, 8
	s_addc_u32 s1, s1, 0
	s_add_i32 s8, s8, -1
	v_add_u32_e32 v3, v1, v3
	v_lshrrev_b32_e32 v4, s9, v3
	v_mul_lo_u32 v3, v4, s10
	s_cmp_lg_u32 s8, 0
	v_sub_u32_e32 v3, v1, v3
	v_mad_u64_u32 v[0:1], s[10:11], v3, s12, v[0:1]
	v_mad_u64_u32 v[2:3], s[10:11], v3, s13, v[2:3]
	v_mov_b32_e32 v1, v4
	s_cbranch_scc1 .LBB19_293
.LBB19_294:
	s_cbranch_execnz .LBB19_297
.LBB19_295:
	s_waitcnt lgkmcnt(0)
	v_mul_hi_u32 v0, s37, v8
	s_andn2_b64 vcc, exec, s[46:47]
	v_add_u32_e32 v0, v8, v0
	v_lshrrev_b32_e32 v1, s38, v0
	v_mul_lo_u32 v0, v1, s36
	v_sub_u32_e32 v2, v8, v0
	v_mul_lo_u32 v0, v2, s28
	v_mul_lo_u32 v2, v2, s29
	s_cbranch_vccnz .LBB19_297
; %bb.296:
	s_waitcnt vmcnt(0)
	v_mul_hi_u32 v3, s44, v1
	v_add_u32_e32 v3, v1, v3
	v_lshrrev_b32_e32 v3, s45, v3
	v_mul_lo_u32 v3, v3, s39
	v_sub_u32_e32 v3, v1, v3
	v_mad_u64_u32 v[0:1], s[0:1], v3, s30, v[0:1]
	v_mad_u64_u32 v[2:3], s[0:1], v3, s31, v[2:3]
.LBB19_297:
	s_waitcnt vmcnt(0) lgkmcnt(0)
	v_mov_b32_e32 v3, s27
	s_and_b32 s12, 0xffff, s74
	v_add_co_u32_e32 v1, vcc, s26, v2
	s_cmp_lt_i32 s12, 11
	v_addc_co_u32_e32 v2, vcc, 0, v3, vcc
	s_cbranch_scc1 .LBB19_304
; %bb.298:
	s_cmp_gt_i32 s12, 25
	s_cbranch_scc0 .LBB19_325
; %bb.299:
	s_cmp_gt_i32 s12, 28
	s_cbranch_scc0 .LBB19_327
	;; [unrolled: 3-line block ×4, first 2 shown]
; %bb.302:
	s_cmp_eq_u32 s12, 46
	s_mov_b64 s[8:9], 0
	s_cbranch_scc0 .LBB19_337
; %bb.303:
	global_load_dword v3, v[1:2], off
	s_mov_b64 s[0:1], -1
	s_mov_b64 s[2:3], 0
	s_waitcnt vmcnt(0)
	v_lshlrev_b32_e32 v3, 16, v3
	s_branch .LBB19_338
.LBB19_304:
	s_mov_b64 s[0:1], 0
                                        ; implicit-def: $vgpr3
	s_mov_b64 s[2:3], s[54:55]
	s_cbranch_execnz .LBB19_515
.LBB19_305:
	s_andn2_b64 vcc, exec, s[0:1]
	s_cbranch_vccnz .LBB19_563
.LBB19_306:
	s_mov_b32 s0, 0x41000000
	s_waitcnt vmcnt(0)
	v_cmp_le_f32_e64 s[0:1], |v3|, s0
                                        ; implicit-def: $vgpr1
	s_and_saveexec_b64 s[8:9], s[0:1]
	s_xor_b64 s[8:9], exec, s[8:9]
	s_cbranch_execz .LBB19_312
; %bb.307:
	v_fma_f32 v1, |v3|, 0.5, -2.0
	v_mov_b32_e32 v2, 0xa3c2be86
	v_fmac_f32_e32 v2, 0x224cf950, v1
	v_mov_b32_e32 v4, 0xa24cf950
	v_fmac_f32_e32 v4, v1, v2
	v_add_f32_e32 v4, 0x25331f1f, v4
	v_fma_f32 v2, v1, v4, -v2
	v_add_f32_e32 v2, 0xa69f5554, v2
	v_fma_f32 v4, v1, v2, -v4
	;; [unrolled: 2-line block ×25, first 2 shown]
	v_add_f32_e32 v2, 0xbe34a688, v2
	s_mov_b32 s0, 0x3fb8aa3b
	v_fma_f32 v1, v1, v2, -v4
	v_mul_f32_e64 v2, |v3|, s0
	v_rndne_f32_e32 v5, v2
	v_sub_f32_e32 v6, v2, v5
	v_fma_f32 v2, |v3|, s0, -v2
	s_mov_b32 s0, 0x32a5705f
	v_fma_f32 v2, |v3|, s0, v2
	v_add_f32_e32 v2, v6, v2
	v_exp_f32_e32 v6, v2
	v_cvt_i32_f32_e32 v5, v5
	v_add_f32_e32 v1, 0x3e81531c, v1
	v_sub_f32_e32 v1, v1, v4
	v_mul_f32_e32 v1, 0.5, v1
	s_mov_b32 s0, 0xc2ce8ed0
	v_mul_f32_e64 v2, |v3|, v1
	v_ldexp_f32 v1, v6, v5
	v_cmp_nlt_f32_e64 s[0:1], |v3|, s0
	v_cndmask_b32_e64 v1, 0, v1, s[0:1]
	s_mov_b32 s0, 0x42b17218
	v_mov_b32_e32 v4, 0x7f800000
	v_cmp_ngt_f32_e64 s[0:1], |v3|, s0
	v_cmp_ngt_f32_e32 vcc, 0, v3
	v_cndmask_b32_e64 v3, v4, v1, s[0:1]
                                        ; implicit-def: $vgpr1
	s_and_saveexec_b64 s[0:1], vcc
	s_xor_b64 s[0:1], exec, s[0:1]
; %bb.308:
	v_mul_f32_e32 v1, v3, v2
                                        ; implicit-def: $vgpr3
                                        ; implicit-def: $vgpr2
; %bb.309:
	s_andn2_saveexec_b64 s[0:1], s[0:1]
; %bb.310:
	v_mul_f32_e64 v1, v2, -v3
; %bb.311:
	s_or_b64 exec, exec, s[0:1]
                                        ; implicit-def: $vgpr3
.LBB19_312:
	s_andn2_saveexec_b64 s[8:9], s[8:9]
	s_cbranch_execz .LBB19_318
; %bb.313:
	v_and_b32_e32 v1, 0x7fffffff, v3
	s_mov_b32 s10, 0x42000000
	v_div_scale_f32 v2, s[0:1], v1, v1, s10
	v_div_scale_f32 v1, vcc, s10, v1, s10
	s_mov_b32 s11, 0x3fb8aa3b
	s_mov_b32 s12, 0x32a5705f
	v_mov_b32_e32 v4, 0x22a2dc57
	v_mov_b32_e32 v6, 0xa30aab6e
	v_cmp_ngt_f32_e64 s[0:1], 0, v3
	v_rcp_f32_e32 v5, v2
	v_fma_f32 v7, -v2, v5, 1.0
	v_fmac_f32_e32 v5, v7, v5
	v_mul_f32_e32 v7, v1, v5
	v_fma_f32 v9, -v2, v7, v1
	v_fmac_f32_e32 v7, v9, v5
	v_fma_f32 v1, -v2, v7, v1
	v_div_fmas_f32 v1, v1, v5, v7
	v_mul_f32_e64 v2, |v3|, s11
	v_rndne_f32_e32 v5, v2
	v_fma_f32 v7, |v3|, s11, -v2
	v_sub_f32_e32 v2, v2, v5
	v_fma_f32 v7, |v3|, s12, v7
	v_add_f32_e32 v2, v2, v7
	v_cvt_i32_f32_e32 v5, v5
	v_exp_f32_e32 v2, v2
	s_mov_b32 s11, 0xc2ce8ed0
	s_mov_b32 s12, 0x42b17218
	v_cmp_nlt_f32_e64 vcc, |v3|, s11
	v_ldexp_f32 v2, v2, v5
	v_mov_b32_e32 v7, 0x7f800000
	v_cndmask_b32_e32 v2, 0, v2, vcc
	v_cmp_ngt_f32_e64 vcc, |v3|, s12
	v_div_fixup_f32 v1, v1, |v3|, s10
	v_add_f32_e32 v1, -2.0, v1
	v_fmac_f32_e32 v4, 0x230aab6e, v1
	v_fmac_f32_e32 v6, v1, v4
	v_add_f32_e32 v5, 0xa456751e, v6
	v_fma_f32 v4, v1, v5, -v4
	v_add_f32_e32 v4, 0xa4140365, v4
	v_fma_f32 v5, v1, v4, -v5
	;; [unrolled: 2-line block ×22, first 2 shown]
	v_add_f32_e32 v1, 0x3f4750c6, v1
	v_cndmask_b32_e32 v2, v7, v2, vcc
	v_sub_f32_e32 v4, v1, v5
                                        ; implicit-def: $vgpr1
	s_and_saveexec_b64 s[10:11], s[0:1]
	s_xor_b64 s[10:11], exec, s[10:11]
	s_cbranch_execz .LBB19_315
; %bb.314:
	s_mov_b32 s0, 0xf800000
	s_mov_b32 s1, 0x4f800000
	v_mul_f32_e64 v1, |v3|, s1
	v_cmp_lt_f32_e64 vcc, |v3|, s0
	v_cndmask_b32_e64 v1, |v3|, v1, vcc
	v_sqrt_f32_e32 v3, v1
	v_mul_f32_e32 v4, 0.5, v4
	v_mul_f32_e32 v2, v2, v4
	v_add_u32_e32 v4, -1, v3
	v_fma_f32 v5, -v4, v3, v1
	v_cmp_ge_f32_e64 s[0:1], 0, v5
	v_add_u32_e32 v5, 1, v3
	v_cndmask_b32_e64 v4, v3, v4, s[0:1]
	v_fma_f32 v3, -v5, v3, v1
	v_cmp_lt_f32_e64 s[0:1], 0, v3
	v_cndmask_b32_e64 v3, v4, v5, s[0:1]
	v_mul_f32_e32 v4, 0x37800000, v3
	v_cndmask_b32_e32 v3, v3, v4, vcc
	v_mov_b32_e32 v4, 0x260
	v_cmp_class_f32_e32 vcc, v1, v4
	v_cndmask_b32_e32 v1, v3, v1, vcc
	v_div_scale_f32 v3, s[0:1], v1, v1, v2
	v_div_scale_f32 v4, vcc, v2, v1, v2
	v_rcp_f32_e32 v5, v3
	v_fma_f32 v6, -v3, v5, 1.0
	v_fmac_f32_e32 v5, v6, v5
	v_mul_f32_e32 v6, v4, v5
	v_fma_f32 v7, -v3, v6, v4
	v_fmac_f32_e32 v6, v7, v5
	v_fma_f32 v3, -v3, v6, v4
	v_div_fmas_f32 v3, v3, v5, v6
                                        ; implicit-def: $vgpr4
	v_div_fixup_f32 v1, v3, v1, v2
                                        ; implicit-def: $vgpr3
                                        ; implicit-def: $vgpr2
.LBB19_315:
	s_andn2_saveexec_b64 s[10:11], s[10:11]
	s_cbranch_execz .LBB19_317
; %bb.316:
	s_mov_b32 s0, 0xf800000
	s_mov_b32 s1, 0x4f800000
	v_mul_f32_e64 v1, |v3|, s1
	v_cmp_lt_f32_e64 vcc, |v3|, s0
	v_cndmask_b32_e64 v1, |v3|, v1, vcc
	v_sqrt_f32_e32 v3, v1
	v_add_u32_e32 v5, -1, v3
	v_fma_f32 v6, -v5, v3, v1
	v_cmp_ge_f32_e64 s[0:1], 0, v6
	v_add_u32_e32 v6, 1, v3
	v_cndmask_b32_e64 v5, v3, v5, s[0:1]
	v_fma_f32 v3, -v6, v3, v1
	v_cmp_lt_f32_e64 s[0:1], 0, v3
	v_cndmask_b32_e64 v3, v5, v6, s[0:1]
	v_mul_f32_e32 v5, 0x37800000, v3
	v_cndmask_b32_e32 v3, v3, v5, vcc
	v_mov_b32_e32 v5, 0x260
	v_cmp_class_f32_e32 vcc, v1, v5
	v_cndmask_b32_e32 v1, v3, v1, vcc
	v_mul_f32_e32 v3, -0.5, v4
	v_mul_f32_e32 v2, v2, v3
	v_div_scale_f32 v3, s[0:1], v1, v1, v2
	v_div_scale_f32 v4, vcc, v2, v1, v2
	v_rcp_f32_e32 v5, v3
	v_fma_f32 v6, -v3, v5, 1.0
	v_fmac_f32_e32 v5, v6, v5
	v_mul_f32_e32 v6, v4, v5
	v_fma_f32 v7, -v3, v6, v4
	v_fmac_f32_e32 v6, v7, v5
	v_fma_f32 v3, -v3, v6, v4
	v_div_fmas_f32 v3, v3, v5, v6
	v_div_fixup_f32 v1, v3, v1, v2
.LBB19_317:
	s_or_b64 exec, exec, s[10:11]
.LBB19_318:
	s_or_b64 exec, exec, s[8:9]
	v_mov_b32_e32 v2, s25
	s_and_b32 s14, s73, 0xff
	v_add_co_u32_e32 v3, vcc, s24, v0
	s_cmp_lt_i32 s14, 11
	v_addc_co_u32_e32 v4, vcc, 0, v2, vcc
	s_cbranch_scc1 .LBB19_326
; %bb.319:
	s_and_b32 s15, 0xffff, s14
	s_cmp_gt_i32 s15, 25
	s_cbranch_scc0 .LBB19_328
; %bb.320:
	s_cmp_gt_i32 s15, 28
	s_cbranch_scc0 .LBB19_330
; %bb.321:
	;; [unrolled: 3-line block ×4, first 2 shown]
	s_mov_b64 s[10:11], 0
	s_mov_b64 s[0:1], -1
	s_cmp_eq_u32 s15, 46
	s_mov_b64 s[8:9], 0
	s_cbranch_scc0 .LBB19_342
; %bb.324:
	v_bfe_u32 v0, v1, 16, 1
	s_movk_i32 s0, 0x7fff
	v_add3_u32 v0, v1, v0, s0
	v_cmp_o_f32_e32 vcc, v1, v1
	v_mov_b32_e32 v2, 0x7fc0
	v_cndmask_b32_sdwa v0, v2, v0, vcc dst_sel:DWORD dst_unused:UNUSED_PAD src0_sel:DWORD src1_sel:WORD_1
	global_store_dword v[3:4], v0, off
	s_mov_b64 s[8:9], -1
	s_mov_b64 s[0:1], 0
	s_branch .LBB19_342
.LBB19_325:
	s_mov_b64 s[8:9], -1
	s_mov_b64 s[0:1], 0
	s_mov_b64 s[2:3], s[54:55]
                                        ; implicit-def: $vgpr3
	s_branch .LBB19_479
.LBB19_326:
	s_mov_b64 s[10:11], -1
	s_mov_b64 s[8:9], 0
	s_mov_b64 s[0:1], s[52:53]
	s_branch .LBB19_411
.LBB19_327:
	s_mov_b64 s[8:9], -1
	s_mov_b64 s[0:1], 0
	s_mov_b64 s[2:3], s[54:55]
                                        ; implicit-def: $vgpr3
	s_branch .LBB19_460
.LBB19_328:
	s_mov_b64 s[10:11], -1
	s_mov_b64 s[8:9], 0
	s_mov_b64 s[0:1], s[52:53]
	s_branch .LBB19_369
.LBB19_329:
	s_mov_b64 s[8:9], -1
	s_mov_b64 s[0:1], 0
	s_mov_b64 s[2:3], s[54:55]
                                        ; implicit-def: $vgpr3
	s_branch .LBB19_455
.LBB19_330:
	s_mov_b64 s[10:11], -1
	s_mov_b64 s[8:9], 0
	s_mov_b64 s[0:1], s[52:53]
	s_branch .LBB19_352
.LBB19_331:
	s_andn2_saveexec_b64 s[12:13], s[12:13]
	s_cbranch_execz .LBB19_80
.LBB19_332:
	s_mov_b32 s16, 0x46000000
	v_add_f32_e64 v0, |v1|, s16
	v_and_b32_e32 v0, 0xff, v0
	v_cmp_ne_u32_e32 vcc, 0, v0
	s_andn2_b64 s[10:11], s[10:11], exec
	s_and_b64 s[16:17], vcc, exec
	s_or_b64 s[10:11], s[10:11], s[16:17]
	s_or_b64 exec, exec, s[12:13]
	v_mov_b32_e32 v2, 0
	s_and_saveexec_b64 s[12:13], s[10:11]
	s_cbranch_execnz .LBB19_81
	s_branch .LBB19_82
.LBB19_333:
	s_mov_b64 s[8:9], -1
	s_mov_b64 s[0:1], 0
	s_mov_b64 s[2:3], s[54:55]
                                        ; implicit-def: $vgpr3
	s_branch .LBB19_338
.LBB19_334:
	s_mov_b64 s[10:11], -1
	s_mov_b64 s[8:9], 0
	s_mov_b64 s[0:1], s[52:53]
	s_branch .LBB19_348
.LBB19_335:
	s_andn2_saveexec_b64 s[12:13], s[12:13]
	s_cbranch_execz .LBB19_93
.LBB19_336:
	s_mov_b32 s16, 0x42800000
	v_add_f32_e64 v0, |v1|, s16
	v_and_b32_e32 v0, 0xff, v0
	v_cmp_ne_u32_e32 vcc, 0, v0
	s_andn2_b64 s[10:11], s[10:11], exec
	s_and_b64 s[16:17], vcc, exec
	s_or_b64 s[10:11], s[10:11], s[16:17]
	s_or_b64 exec, exec, s[12:13]
	v_mov_b32_e32 v2, 0
	s_and_saveexec_b64 s[12:13], s[10:11]
	s_cbranch_execnz .LBB19_94
	s_branch .LBB19_95
.LBB19_337:
	s_mov_b64 s[2:3], -1
                                        ; implicit-def: $vgpr3
	s_mov_b64 s[0:1], 0
.LBB19_338:
	s_and_b64 vcc, exec, s[8:9]
	s_cbranch_vccz .LBB19_454
; %bb.339:
	s_cmp_eq_u32 s12, 44
	s_cbranch_scc0 .LBB19_453
; %bb.340:
	global_load_ubyte v3, v[1:2], off
	s_movk_i32 s2, 0xff
	v_mov_b32_e32 v4, 0x7f800001
	v_mov_b32_e32 v5, 0x400000
	s_mov_b64 s[0:1], -1
	s_waitcnt vmcnt(0)
	v_lshlrev_b32_e32 v6, 23, v3
	v_cmp_ne_u32_e32 vcc, s2, v3
	v_cndmask_b32_e32 v4, v4, v6, vcc
	v_cmp_ne_u32_e32 vcc, 0, v3
	v_cndmask_b32_e32 v3, v5, v4, vcc
	s_mov_b64 s[2:3], 0
	s_branch .LBB19_454
.LBB19_341:
	s_mov_b64 s[10:11], -1
	s_mov_b64 s[8:9], 0
	s_mov_b64 s[0:1], s[52:53]
.LBB19_342:
	s_and_b64 vcc, exec, s[10:11]
	s_cbranch_vccz .LBB19_347
; %bb.343:
	s_cmp_eq_u32 s15, 44
	s_mov_b64 s[0:1], -1
	s_cbranch_scc0 .LBB19_347
; %bb.344:
	v_bfe_u32 v0, v1, 23, 8
	s_movk_i32 s0, 0xff
	v_cmp_ne_u32_e32 vcc, s0, v0
	v_mov_b32_e32 v2, 0xff
	s_and_saveexec_b64 s[8:9], vcc
; %bb.345:
	s_mov_b32 s0, 0x3fffff
	v_and_b32_e32 v5, 0x400000, v1
	v_and_or_b32 v0, v1, s0, v0
	v_cmp_ne_u32_e32 vcc, 0, v5
	v_cmp_ne_u32_e64 s[0:1], 0, v0
	s_and_b64 s[0:1], vcc, s[0:1]
	v_lshrrev_b32_e32 v2, 23, v1
	v_cndmask_b32_e64 v0, 0, 1, s[0:1]
	v_add_u32_e32 v2, v2, v0
; %bb.346:
	s_or_b64 exec, exec, s[8:9]
	s_mov_b64 s[8:9], -1
	s_mov_b64 s[0:1], 0
	global_store_byte v[3:4], v2, off
.LBB19_347:
	s_mov_b64 s[10:11], 0
.LBB19_348:
	s_and_b64 vcc, exec, s[10:11]
	s_cbranch_vccz .LBB19_351
; %bb.349:
	s_cmp_eq_u32 s15, 29
	s_mov_b64 s[0:1], -1
	s_cbranch_scc0 .LBB19_351
; %bb.350:
	v_trunc_f32_e32 v0, v1
	v_mul_f32_e32 v2, 0x2f800000, v0
	v_floor_f32_e32 v2, v2
	v_fmac_f32_e32 v0, 0xcf800000, v2
	v_cvt_u32_f32_e32 v6, v2
	v_cvt_u32_f32_e32 v5, v0
	s_mov_b64 s[8:9], -1
	s_mov_b64 s[0:1], 0
	s_mov_b64 s[10:11], 0
	global_store_dwordx2 v[3:4], v[5:6], off
	s_branch .LBB19_352
.LBB19_351:
	s_mov_b64 s[10:11], 0
.LBB19_352:
	s_and_b64 vcc, exec, s[10:11]
	s_cbranch_vccz .LBB19_368
; %bb.353:
	s_cmp_lt_i32 s15, 27
	s_mov_b64 s[8:9], -1
	s_cbranch_scc1 .LBB19_359
; %bb.354:
	v_cvt_u32_f32_e32 v0, v1
	s_cmp_gt_i32 s15, 27
	s_cbranch_scc0 .LBB19_356
; %bb.355:
	s_mov_b64 s[8:9], 0
	global_store_dword v[3:4], v0, off
.LBB19_356:
	s_andn2_b64 vcc, exec, s[8:9]
	s_cbranch_vccnz .LBB19_358
; %bb.357:
	global_store_short v[3:4], v0, off
.LBB19_358:
	s_mov_b64 s[8:9], 0
.LBB19_359:
	s_andn2_b64 vcc, exec, s[8:9]
	s_cbranch_vccnz .LBB19_367
; %bb.360:
	v_and_b32_e32 v0, 0x7fffffff, v1
	s_mov_b32 s8, 0x43800000
	v_cmp_gt_u32_e32 vcc, s8, v0
	v_mov_b32_e32 v2, 0x80
	s_and_saveexec_b64 s[8:9], vcc
	s_cbranch_execz .LBB19_366
; %bb.361:
	s_mov_b32 s10, 0x3bffffff
	v_cmp_lt_u32_e32 vcc, s10, v0
	s_mov_b64 s[10:11], 0
                                        ; implicit-def: $vgpr0
	s_and_saveexec_b64 s[12:13], vcc
	s_xor_b64 s[12:13], exec, s[12:13]
	s_cbranch_execz .LBB19_594
; %bb.362:
	v_bfe_u32 v0, v1, 20, 1
	s_mov_b32 s16, 0x487ffff
	v_add3_u32 v0, v1, v0, s16
	s_mov_b64 s[10:11], exec
	v_lshrrev_b32_e32 v0, 20, v0
	s_andn2_saveexec_b64 s[12:13], s[12:13]
	s_cbranch_execnz .LBB19_595
.LBB19_363:
	s_or_b64 exec, exec, s[12:13]
	v_mov_b32_e32 v2, 0
	s_and_saveexec_b64 s[12:13], s[10:11]
.LBB19_364:
	v_lshrrev_b32_e32 v2, 24, v1
	s_movk_i32 s10, 0x80
	v_and_or_b32 v2, v2, s10, v0
.LBB19_365:
	s_or_b64 exec, exec, s[12:13]
.LBB19_366:
	s_or_b64 exec, exec, s[8:9]
	global_store_byte v[3:4], v2, off
.LBB19_367:
	s_mov_b64 s[8:9], -1
.LBB19_368:
	s_mov_b64 s[10:11], 0
.LBB19_369:
	s_and_b64 vcc, exec, s[10:11]
	s_cbranch_vccz .LBB19_410
; %bb.370:
	s_cmp_gt_i32 s15, 22
	s_mov_b64 s[10:11], -1
	s_cbranch_scc0 .LBB19_402
; %bb.371:
	s_cmp_lt_i32 s15, 24
	s_mov_b64 s[8:9], -1
	s_cbranch_scc1 .LBB19_391
; %bb.372:
	s_cmp_gt_i32 s15, 24
	s_cbranch_scc0 .LBB19_380
; %bb.373:
	v_and_b32_e32 v0, 0x7fffffff, v1
	s_mov_b32 s8, 0x47800000
	v_cmp_gt_u32_e32 vcc, s8, v0
	v_mov_b32_e32 v2, 0x80
	s_and_saveexec_b64 s[8:9], vcc
	s_cbranch_execz .LBB19_379
; %bb.374:
	s_mov_b32 s10, 0x37ffffff
	v_cmp_lt_u32_e32 vcc, s10, v0
	s_mov_b64 s[10:11], 0
                                        ; implicit-def: $vgpr0
	s_and_saveexec_b64 s[12:13], vcc
	s_xor_b64 s[12:13], exec, s[12:13]
	s_cbranch_execz .LBB19_597
; %bb.375:
	v_bfe_u32 v0, v1, 21, 1
	s_mov_b32 s16, 0x88fffff
	v_add3_u32 v0, v1, v0, s16
	s_mov_b64 s[10:11], exec
	v_lshrrev_b32_e32 v0, 21, v0
	s_andn2_saveexec_b64 s[12:13], s[12:13]
	s_cbranch_execnz .LBB19_598
.LBB19_376:
	s_or_b64 exec, exec, s[12:13]
	v_mov_b32_e32 v2, 0
	s_and_saveexec_b64 s[12:13], s[10:11]
.LBB19_377:
	v_lshrrev_b32_e32 v2, 24, v1
	s_movk_i32 s10, 0x80
	v_and_or_b32 v2, v2, s10, v0
.LBB19_378:
	s_or_b64 exec, exec, s[12:13]
.LBB19_379:
	s_or_b64 exec, exec, s[8:9]
	s_mov_b64 s[8:9], 0
	global_store_byte v[3:4], v2, off
.LBB19_380:
	s_and_b64 vcc, exec, s[8:9]
	s_cbranch_vccz .LBB19_390
; %bb.381:
	v_and_b32_e32 v2, 0x7fffffff, v1
	s_mov_b32 s8, 0x43f00000
	v_cmp_gt_u32_e32 vcc, s8, v2
                                        ; implicit-def: $vgpr0
	s_and_saveexec_b64 s[8:9], vcc
	s_xor_b64 s[8:9], exec, s[8:9]
	s_cbranch_execz .LBB19_387
; %bb.382:
	s_mov_b32 s10, 0x3c7fffff
	v_cmp_lt_u32_e32 vcc, s10, v2
                                        ; implicit-def: $vgpr0
	s_and_saveexec_b64 s[10:11], vcc
	s_xor_b64 s[10:11], exec, s[10:11]
; %bb.383:
	v_bfe_u32 v0, v1, 20, 1
	s_mov_b32 s12, 0x407ffff
	v_add3_u32 v0, v1, v0, s12
	v_lshrrev_b32_e32 v2, 20, v0
	v_and_b32_e32 v0, 0xff00000, v0
	s_mov_b32 s12, 0x7f00000
	v_mov_b32_e32 v5, 0x7e
	v_cmp_ne_u32_e32 vcc, s12, v0
	v_cndmask_b32_e32 v0, v5, v2, vcc
; %bb.384:
	s_andn2_saveexec_b64 s[10:11], s[10:11]
; %bb.385:
	s_mov_b32 s12, 0x46800000
	v_add_f32_e64 v0, |v1|, s12
; %bb.386:
	s_or_b64 exec, exec, s[10:11]
                                        ; implicit-def: $vgpr2
.LBB19_387:
	s_andn2_saveexec_b64 s[8:9], s[8:9]
; %bb.388:
	s_mov_b32 s10, 0x7f800000
	v_mov_b32_e32 v0, 0x7e
	v_mov_b32_e32 v5, 0x7f
	v_cmp_lt_u32_e32 vcc, s10, v2
	v_cndmask_b32_e32 v0, v0, v5, vcc
; %bb.389:
	s_or_b64 exec, exec, s[8:9]
	v_lshrrev_b32_e32 v2, 24, v1
	s_movk_i32 s8, 0x80
	v_and_or_b32 v0, v2, s8, v0
	global_store_byte v[3:4], v0, off
.LBB19_390:
	s_mov_b64 s[8:9], 0
.LBB19_391:
	s_andn2_b64 vcc, exec, s[8:9]
	s_cbranch_vccnz .LBB19_401
; %bb.392:
	v_and_b32_e32 v2, 0x7fffffff, v1
	s_mov_b32 s8, 0x47800000
	v_cmp_gt_u32_e32 vcc, s8, v2
                                        ; implicit-def: $vgpr0
	s_and_saveexec_b64 s[8:9], vcc
	s_xor_b64 s[8:9], exec, s[8:9]
	s_cbranch_execz .LBB19_398
; %bb.393:
	s_mov_b32 s10, 0x387fffff
	v_cmp_lt_u32_e32 vcc, s10, v2
                                        ; implicit-def: $vgpr0
	s_and_saveexec_b64 s[10:11], vcc
	s_xor_b64 s[10:11], exec, s[10:11]
; %bb.394:
	v_bfe_u32 v0, v1, 21, 1
	s_mov_b32 s12, 0x80fffff
	v_add3_u32 v0, v1, v0, s12
	v_lshrrev_b32_e32 v0, 21, v0
; %bb.395:
	s_andn2_saveexec_b64 s[10:11], s[10:11]
; %bb.396:
	s_mov_b32 s12, 0x43000000
	v_add_f32_e64 v0, |v1|, s12
; %bb.397:
	s_or_b64 exec, exec, s[10:11]
                                        ; implicit-def: $vgpr2
.LBB19_398:
	s_andn2_saveexec_b64 s[8:9], s[8:9]
; %bb.399:
	s_mov_b32 s10, 0x7f800000
	v_mov_b32_e32 v0, 0x7c
	v_mov_b32_e32 v5, 0x7f
	v_cmp_lt_u32_e32 vcc, s10, v2
	v_cndmask_b32_e32 v0, v0, v5, vcc
; %bb.400:
	s_or_b64 exec, exec, s[8:9]
	v_lshrrev_b32_e32 v2, 24, v1
	s_movk_i32 s8, 0x80
	v_and_or_b32 v0, v2, s8, v0
	global_store_byte v[3:4], v0, off
.LBB19_401:
	s_mov_b64 s[10:11], 0
	s_mov_b64 s[8:9], -1
.LBB19_402:
	s_andn2_b64 vcc, exec, s[10:11]
	s_cbranch_vccnz .LBB19_410
; %bb.403:
	s_cmp_gt_i32 s15, 14
	s_mov_b64 s[10:11], -1
	s_cbranch_scc0 .LBB19_407
; %bb.404:
	s_cmp_eq_u32 s15, 15
	s_mov_b64 s[0:1], -1
	s_cbranch_scc0 .LBB19_406
; %bb.405:
	v_bfe_u32 v0, v1, 16, 1
	s_movk_i32 s0, 0x7fff
	v_add3_u32 v0, v1, v0, s0
	v_cmp_o_f32_e32 vcc, v1, v1
	v_mov_b32_e32 v2, 0x7fc0
	v_cndmask_b32_sdwa v0, v2, v0, vcc dst_sel:DWORD dst_unused:UNUSED_PAD src0_sel:DWORD src1_sel:WORD_1
	global_store_short v[3:4], v0, off
	s_mov_b64 s[8:9], -1
	s_mov_b64 s[0:1], 0
.LBB19_406:
	s_mov_b64 s[10:11], 0
.LBB19_407:
	s_and_b64 vcc, exec, s[10:11]
	s_cbranch_vccz .LBB19_410
; %bb.408:
	s_cmp_eq_u32 s15, 11
	s_mov_b64 s[0:1], -1
	s_cbranch_scc0 .LBB19_410
; %bb.409:
	v_cmp_neq_f32_e32 vcc, 0, v1
	v_cndmask_b32_e64 v0, 0, 1, vcc
	s_mov_b64 s[8:9], -1
	s_mov_b64 s[0:1], 0
	global_store_byte v[3:4], v0, off
.LBB19_410:
	s_mov_b64 s[10:11], 0
.LBB19_411:
	s_and_b64 vcc, exec, s[10:11]
	s_cbranch_vccz .LBB19_450
; %bb.412:
	s_and_b32 s10, 0xffff, s14
	s_cmp_lt_i32 s10, 5
	s_mov_b64 s[8:9], -1
	s_cbranch_scc1 .LBB19_433
; %bb.413:
	s_cmp_lt_i32 s10, 8
	s_cbranch_scc1 .LBB19_423
; %bb.414:
	s_cmp_lt_i32 s10, 9
	s_cbranch_scc1 .LBB19_420
; %bb.415:
	s_cmp_gt_i32 s10, 9
	s_cbranch_scc0 .LBB19_417
; %bb.416:
	v_cvt_f64_f32_e32 v[9:10], v1
	v_mov_b32_e32 v11, 0
	v_mov_b32_e32 v12, v11
	s_mov_b64 s[8:9], 0
	global_store_dwordx4 v[3:4], v[9:12], off
.LBB19_417:
	s_andn2_b64 vcc, exec, s[8:9]
	s_cbranch_vccnz .LBB19_419
; %bb.418:
	v_mov_b32_e32 v2, 0
	global_store_dwordx2 v[3:4], v[1:2], off
.LBB19_419:
	s_mov_b64 s[8:9], 0
.LBB19_420:
	s_andn2_b64 vcc, exec, s[8:9]
	s_cbranch_vccnz .LBB19_422
; %bb.421:
	v_cvt_f16_f32_e32 v0, v1
	global_store_dword v[3:4], v0, off
.LBB19_422:
	s_mov_b64 s[8:9], 0
.LBB19_423:
	s_andn2_b64 vcc, exec, s[8:9]
	s_cbranch_vccnz .LBB19_432
; %bb.424:
	s_cmp_lt_i32 s10, 6
	s_mov_b64 s[8:9], -1
	s_cbranch_scc1 .LBB19_430
; %bb.425:
	s_cmp_gt_i32 s10, 6
	s_cbranch_scc0 .LBB19_427
; %bb.426:
	v_cvt_f64_f32_e32 v[5:6], v1
	s_mov_b64 s[8:9], 0
	global_store_dwordx2 v[3:4], v[5:6], off
.LBB19_427:
	s_andn2_b64 vcc, exec, s[8:9]
	s_cbranch_vccnz .LBB19_429
; %bb.428:
	global_store_dword v[3:4], v1, off
.LBB19_429:
	s_mov_b64 s[8:9], 0
.LBB19_430:
	s_andn2_b64 vcc, exec, s[8:9]
	s_cbranch_vccnz .LBB19_432
; %bb.431:
	v_cvt_f16_f32_e32 v0, v1
	global_store_short v[3:4], v0, off
.LBB19_432:
	s_mov_b64 s[8:9], 0
.LBB19_433:
	s_andn2_b64 vcc, exec, s[8:9]
	s_cbranch_vccnz .LBB19_449
; %bb.434:
	s_cmp_lt_i32 s10, 2
	s_mov_b64 s[8:9], -1
	s_cbranch_scc1 .LBB19_444
; %bb.435:
	s_cmp_lt_i32 s10, 3
	s_cbranch_scc1 .LBB19_441
; %bb.436:
	s_cmp_gt_i32 s10, 3
	s_cbranch_scc0 .LBB19_438
; %bb.437:
	v_trunc_f32_e32 v0, v1
	s_mov_b32 s8, 0x2f800000
	v_mul_f32_e64 v2, |v0|, s8
	v_floor_f32_e32 v2, v2
	s_mov_b32 s8, 0xcf800000
	v_cvt_u32_f32_e32 v5, v2
	v_fma_f32 v2, v2, s8, |v0|
	v_cvt_u32_f32_e32 v2, v2
	v_ashrrev_i32_e32 v0, 31, v0
	v_xor_b32_e32 v6, v5, v0
	s_mov_b64 s[8:9], 0
	v_xor_b32_e32 v2, v2, v0
	v_sub_co_u32_e32 v5, vcc, v2, v0
	v_subb_co_u32_e32 v6, vcc, v6, v0, vcc
	global_store_dwordx2 v[3:4], v[5:6], off
.LBB19_438:
	s_andn2_b64 vcc, exec, s[8:9]
	s_cbranch_vccnz .LBB19_440
; %bb.439:
	v_cvt_i32_f32_e32 v0, v1
	global_store_dword v[3:4], v0, off
.LBB19_440:
	s_mov_b64 s[8:9], 0
.LBB19_441:
	s_andn2_b64 vcc, exec, s[8:9]
	s_cbranch_vccnz .LBB19_443
; %bb.442:
	v_cvt_i32_f32_e32 v0, v1
	global_store_short v[3:4], v0, off
.LBB19_443:
	s_mov_b64 s[8:9], 0
.LBB19_444:
	s_andn2_b64 vcc, exec, s[8:9]
	s_cbranch_vccnz .LBB19_449
; %bb.445:
	s_cmp_gt_i32 s10, 0
	s_mov_b64 s[8:9], -1
	s_cbranch_scc0 .LBB19_447
; %bb.446:
	v_cvt_i32_f32_e32 v0, v1
	s_mov_b64 s[8:9], 0
	global_store_byte v[3:4], v0, off
.LBB19_447:
	s_andn2_b64 vcc, exec, s[8:9]
	s_cbranch_vccnz .LBB19_449
; %bb.448:
	v_trunc_f32_e32 v0, v1
	s_mov_b32 s8, 0x2f800000
	v_mul_f32_e64 v1, |v0|, s8
	v_floor_f32_e32 v1, v1
	s_mov_b32 s8, 0xcf800000
	v_fma_f32 v1, v1, s8, |v0|
	v_cvt_u32_f32_e32 v1, v1
	v_ashrrev_i32_e32 v0, 31, v0
	v_xor_b32_e32 v1, v1, v0
	v_sub_u32_e32 v0, v1, v0
	global_store_byte v[3:4], v0, off
.LBB19_449:
	s_mov_b64 s[8:9], -1
.LBB19_450:
	s_andn2_b64 vcc, exec, s[8:9]
	s_cbranch_vccnz .LBB19_452
; %bb.451:
	v_add_u32_e32 v8, 0x80, v8
	s_mov_b64 s[8:9], -1
	s_branch .LBB19_565
.LBB19_452:
	s_mov_b64 s[8:9], 0
	s_branch .LBB19_564
.LBB19_453:
	s_mov_b64 s[2:3], -1
                                        ; implicit-def: $vgpr3
.LBB19_454:
	s_mov_b64 s[8:9], 0
.LBB19_455:
	s_and_b64 vcc, exec, s[8:9]
	s_cbranch_vccz .LBB19_459
; %bb.456:
	s_cmp_eq_u32 s12, 29
	s_cbranch_scc0 .LBB19_458
; %bb.457:
	global_load_dwordx2 v[3:4], v[1:2], off
	s_mov_b64 s[0:1], -1
	s_mov_b64 s[2:3], 0
	s_mov_b64 s[8:9], 0
	s_waitcnt vmcnt(0)
	v_ffbh_u32_e32 v5, v4
	v_min_u32_e32 v5, 32, v5
	v_lshlrev_b64 v[3:4], v5, v[3:4]
	v_min_u32_e32 v3, 1, v3
	v_or_b32_e32 v3, v4, v3
	v_cvt_f32_u32_e32 v3, v3
	v_sub_u32_e32 v4, 32, v5
	v_ldexp_f32 v3, v3, v4
	s_branch .LBB19_460
.LBB19_458:
	s_mov_b64 s[2:3], -1
                                        ; implicit-def: $vgpr3
.LBB19_459:
	s_mov_b64 s[8:9], 0
.LBB19_460:
	s_and_b64 vcc, exec, s[8:9]
	s_cbranch_vccz .LBB19_478
; %bb.461:
	s_cmp_lt_i32 s12, 27
	s_cbranch_scc1 .LBB19_464
; %bb.462:
	s_cmp_gt_i32 s12, 27
	s_cbranch_scc0 .LBB19_465
; %bb.463:
	global_load_dword v3, v[1:2], off
	s_mov_b64 s[0:1], 0
	s_waitcnt vmcnt(0)
	v_cvt_f32_u32_e32 v3, v3
	s_branch .LBB19_466
.LBB19_464:
	s_mov_b64 s[0:1], -1
                                        ; implicit-def: $vgpr3
	s_branch .LBB19_469
.LBB19_465:
	s_mov_b64 s[0:1], -1
                                        ; implicit-def: $vgpr3
.LBB19_466:
	s_andn2_b64 vcc, exec, s[0:1]
	s_cbranch_vccnz .LBB19_468
; %bb.467:
	global_load_ushort v3, v[1:2], off
	s_waitcnt vmcnt(0)
	v_cvt_f32_u32_e32 v3, v3
.LBB19_468:
	s_mov_b64 s[0:1], 0
.LBB19_469:
	s_andn2_b64 vcc, exec, s[0:1]
	s_cbranch_vccnz .LBB19_477
; %bb.470:
	global_load_ubyte v4, v[1:2], off
	s_movk_i32 s0, 0x7f
	s_waitcnt vmcnt(0)
	v_cmp_lt_i16_e32 vcc, s0, v4
	s_mov_b64 s[0:1], 0
	s_and_saveexec_b64 s[8:9], vcc
	s_xor_b64 s[8:9], exec, s[8:9]
	s_cbranch_execz .LBB19_491
; %bb.471:
	s_movk_i32 s0, 0x80
	v_cmp_eq_u16_e32 vcc, s0, v4
	s_mov_b64 s[0:1], -1
	s_and_saveexec_b64 s[10:11], vcc
; %bb.472:
	s_xor_b64 s[0:1], exec, -1
; %bb.473:
	s_or_b64 exec, exec, s[10:11]
	s_and_b64 s[0:1], s[0:1], exec
	s_or_saveexec_b64 s[8:9], s[8:9]
	v_mov_b32_e32 v3, 0x7f800001
	s_xor_b64 exec, exec, s[8:9]
	s_cbranch_execnz .LBB19_492
.LBB19_474:
	s_or_b64 exec, exec, s[8:9]
	s_and_saveexec_b64 s[8:9], s[0:1]
	s_cbranch_execz .LBB19_476
.LBB19_475:
	v_lshlrev_b32_e32 v3, 24, v4
	v_and_b32_e32 v4, 0xffff, v4
	v_and_b32_e32 v5, 7, v4
	v_ffbh_u32_e32 v7, v5
	v_min_u32_e32 v7, 32, v7
	v_subrev_u32_e32 v9, 28, v7
	v_bfe_u32 v6, v4, 3, 4
	v_lshlrev_b32_e32 v4, v9, v4
	v_sub_u32_e32 v7, 29, v7
	v_and_b32_e32 v4, 7, v4
	v_cmp_eq_u32_e32 vcc, 0, v6
	v_cndmask_b32_e32 v6, v6, v7, vcc
	v_cndmask_b32_e32 v4, v5, v4, vcc
	v_mov_b32_e32 v5, 0x3b800000
	v_lshlrev_b32_e32 v4, 20, v4
	v_and_b32_e32 v3, 0x80000000, v3
	v_lshl_add_u32 v5, v6, 23, v5
	v_or3_b32 v3, v3, v5, v4
.LBB19_476:
	s_or_b64 exec, exec, s[8:9]
.LBB19_477:
	s_mov_b64 s[0:1], -1
.LBB19_478:
	s_mov_b64 s[8:9], 0
.LBB19_479:
	s_and_b64 vcc, exec, s[8:9]
	s_cbranch_vccz .LBB19_514
; %bb.480:
	s_cmp_gt_i32 s12, 22
	s_cbranch_scc0 .LBB19_490
; %bb.481:
	s_cmp_lt_i32 s12, 24
	s_cbranch_scc1 .LBB19_493
; %bb.482:
	s_cmp_gt_i32 s12, 24
	s_cbranch_scc0 .LBB19_494
; %bb.483:
	global_load_ubyte v4, v[1:2], off
	s_movk_i32 s0, 0x7f
	s_waitcnt vmcnt(0)
	v_cmp_lt_i16_e32 vcc, s0, v4
	s_mov_b64 s[0:1], 0
	s_and_saveexec_b64 s[8:9], vcc
	s_xor_b64 s[8:9], exec, s[8:9]
	s_cbranch_execz .LBB19_506
; %bb.484:
	s_movk_i32 s0, 0x80
	v_cmp_eq_u16_e32 vcc, s0, v4
	s_mov_b64 s[0:1], -1
	s_and_saveexec_b64 s[10:11], vcc
; %bb.485:
	s_xor_b64 s[0:1], exec, -1
; %bb.486:
	s_or_b64 exec, exec, s[10:11]
	s_and_b64 s[0:1], s[0:1], exec
	s_or_saveexec_b64 s[8:9], s[8:9]
	v_mov_b32_e32 v3, 0x7f800001
	s_xor_b64 exec, exec, s[8:9]
	s_cbranch_execnz .LBB19_507
.LBB19_487:
	s_or_b64 exec, exec, s[8:9]
	s_and_saveexec_b64 s[8:9], s[0:1]
	s_cbranch_execz .LBB19_489
.LBB19_488:
	v_lshlrev_b32_e32 v3, 24, v4
	v_and_b32_e32 v4, 0xffff, v4
	v_and_b32_e32 v5, 3, v4
	v_ffbh_u32_e32 v7, v5
	v_min_u32_e32 v7, 32, v7
	v_subrev_u32_e32 v9, 29, v7
	v_bfe_u32 v6, v4, 2, 5
	v_lshlrev_b32_e32 v4, v9, v4
	v_sub_u32_e32 v7, 30, v7
	v_and_b32_e32 v4, 3, v4
	v_cmp_eq_u32_e32 vcc, 0, v6
	v_cndmask_b32_e32 v6, v6, v7, vcc
	v_cndmask_b32_e32 v4, v5, v4, vcc
	v_mov_b32_e32 v5, 0x37800000
	v_lshlrev_b32_e32 v4, 21, v4
	v_and_b32_e32 v3, 0x80000000, v3
	v_lshl_add_u32 v5, v6, 23, v5
	v_or3_b32 v3, v3, v5, v4
.LBB19_489:
	s_or_b64 exec, exec, s[8:9]
	s_mov_b64 s[0:1], 0
	s_branch .LBB19_495
.LBB19_490:
	s_mov_b64 s[8:9], -1
                                        ; implicit-def: $vgpr3
	s_branch .LBB19_501
.LBB19_491:
	s_or_saveexec_b64 s[8:9], s[8:9]
	v_mov_b32_e32 v3, 0x7f800001
	s_xor_b64 exec, exec, s[8:9]
	s_cbranch_execz .LBB19_474
.LBB19_492:
	v_cmp_ne_u16_e32 vcc, 0, v4
	s_andn2_b64 s[0:1], s[0:1], exec
	s_and_b64 s[10:11], vcc, exec
	v_mov_b32_e32 v3, 0
	s_or_b64 s[0:1], s[0:1], s[10:11]
	s_or_b64 exec, exec, s[8:9]
	s_and_saveexec_b64 s[8:9], s[0:1]
	s_cbranch_execnz .LBB19_475
	s_branch .LBB19_476
.LBB19_493:
	s_mov_b64 s[0:1], -1
                                        ; implicit-def: $vgpr3
	s_branch .LBB19_498
.LBB19_494:
	s_mov_b64 s[0:1], -1
                                        ; implicit-def: $vgpr3
.LBB19_495:
	s_and_b64 vcc, exec, s[0:1]
	s_cbranch_vccz .LBB19_497
; %bb.496:
	global_load_ubyte v3, v[1:2], off
	s_mov_b32 s0, 0x7f800000
	s_waitcnt vmcnt(0)
	v_lshlrev_b32_e32 v3, 24, v3
	v_and_b32_e32 v4, 0x7f000000, v3
	v_ffbh_u32_e32 v5, v4
	v_min_u32_e32 v5, 32, v5
	v_sub_u32_e64 v5, v5, 4 clamp
	v_lshlrev_b32_e32 v7, v5, v4
	v_lshlrev_b32_e32 v5, 23, v5
	v_lshrrev_b32_e32 v7, 4, v7
	v_add_u32_e32 v6, 0x1000000, v4
	v_sub_u32_e32 v5, v7, v5
	v_ashrrev_i32_e32 v6, 8, v6
	v_add_u32_e32 v5, 0x3c000000, v5
	v_and_or_b32 v5, v6, s0, v5
	v_cmp_ne_u32_e32 vcc, 0, v4
	v_cndmask_b32_e32 v4, 0, v5, vcc
	s_brev_b32 s0, 1
	v_and_or_b32 v3, v3, s0, v4
.LBB19_497:
	s_mov_b64 s[0:1], 0
.LBB19_498:
	s_andn2_b64 vcc, exec, s[0:1]
	s_cbranch_vccnz .LBB19_500
; %bb.499:
	global_load_ubyte v3, v[1:2], off
	s_movk_i32 s0, 0x7f00
	s_brev_b32 s1, 16
	s_waitcnt vmcnt(0)
	v_lshlrev_b16_e32 v4, 8, v3
	v_lshlrev_b32_e32 v3, 25, v3
	v_lshrrev_b32_e32 v5, 4, v3
	v_and_or_b32 v6, v4, s0, 0.5
	v_or_b32_e32 v5, 0x70000000, v5
	v_add_f32_e32 v6, -0.5, v6
	v_mul_f32_e32 v5, 0x7800000, v5
	v_cmp_gt_u32_e32 vcc, s1, v3
	v_bfe_i32 v4, v4, 0, 16
	v_cndmask_b32_e32 v3, v5, v6, vcc
	s_brev_b32 s0, 1
	v_and_or_b32 v3, v4, s0, v3
.LBB19_500:
	s_mov_b64 s[8:9], 0
	s_mov_b64 s[0:1], -1
.LBB19_501:
	s_andn2_b64 vcc, exec, s[8:9]
	s_cbranch_vccnz .LBB19_514
; %bb.502:
	s_cmp_gt_i32 s12, 14
	s_cbranch_scc0 .LBB19_505
; %bb.503:
	s_cmp_eq_u32 s12, 15
	s_cbranch_scc0 .LBB19_508
; %bb.504:
	global_load_ushort v3, v[1:2], off
	s_mov_b64 s[0:1], -1
	s_mov_b64 s[2:3], 0
	s_waitcnt vmcnt(0)
	v_lshlrev_b32_e32 v3, 16, v3
	s_branch .LBB19_509
.LBB19_505:
	s_mov_b64 s[8:9], -1
                                        ; implicit-def: $vgpr3
	s_branch .LBB19_510
.LBB19_506:
	s_or_saveexec_b64 s[8:9], s[8:9]
	v_mov_b32_e32 v3, 0x7f800001
	s_xor_b64 exec, exec, s[8:9]
	s_cbranch_execz .LBB19_487
.LBB19_507:
	v_cmp_ne_u16_e32 vcc, 0, v4
	s_andn2_b64 s[0:1], s[0:1], exec
	s_and_b64 s[10:11], vcc, exec
	v_mov_b32_e32 v3, 0
	s_or_b64 s[0:1], s[0:1], s[10:11]
	s_or_b64 exec, exec, s[8:9]
	s_and_saveexec_b64 s[8:9], s[0:1]
	s_cbranch_execnz .LBB19_488
	s_branch .LBB19_489
.LBB19_508:
	s_mov_b64 s[2:3], -1
                                        ; implicit-def: $vgpr3
.LBB19_509:
	s_mov_b64 s[8:9], 0
.LBB19_510:
	s_and_b64 vcc, exec, s[8:9]
	s_cbranch_vccz .LBB19_514
; %bb.511:
	s_cmp_eq_u32 s12, 11
	s_cbranch_scc0 .LBB19_513
; %bb.512:
	global_load_ubyte v3, v[1:2], off
	s_mov_b64 s[0:1], -1
	s_mov_b64 s[2:3], 0
	s_waitcnt vmcnt(0)
	v_cmp_ne_u16_e32 vcc, 0, v3
	v_cndmask_b32_e64 v3, 0, 1.0, vcc
	s_branch .LBB19_514
.LBB19_513:
	s_mov_b64 s[2:3], -1
                                        ; implicit-def: $vgpr3
.LBB19_514:
	s_branch .LBB19_305
.LBB19_515:
	s_cmp_lt_i32 s12, 5
	s_cbranch_scc1 .LBB19_520
; %bb.516:
	s_cmp_lt_i32 s12, 8
	s_cbranch_scc1 .LBB19_521
; %bb.517:
	;; [unrolled: 3-line block ×3, first 2 shown]
	s_cmp_gt_i32 s12, 9
	s_cbranch_scc0 .LBB19_523
; %bb.519:
	global_load_dwordx2 v[3:4], v[1:2], off
	s_mov_b64 s[0:1], 0
	s_waitcnt vmcnt(0)
	v_cvt_f32_f64_e32 v3, v[3:4]
	s_branch .LBB19_524
.LBB19_520:
	s_mov_b64 s[0:1], -1
                                        ; implicit-def: $vgpr3
	s_branch .LBB19_542
.LBB19_521:
	s_mov_b64 s[0:1], -1
                                        ; implicit-def: $vgpr3
	s_branch .LBB19_530
.LBB19_522:
	s_mov_b64 s[0:1], -1
                                        ; implicit-def: $vgpr3
	s_branch .LBB19_527
.LBB19_523:
	s_mov_b64 s[0:1], -1
                                        ; implicit-def: $vgpr3
.LBB19_524:
	s_andn2_b64 vcc, exec, s[0:1]
	s_cbranch_vccnz .LBB19_526
; %bb.525:
	global_load_dword v3, v[1:2], off
.LBB19_526:
	s_mov_b64 s[0:1], 0
.LBB19_527:
	s_andn2_b64 vcc, exec, s[0:1]
	s_cbranch_vccnz .LBB19_529
; %bb.528:
	global_load_dword v3, v[1:2], off
	s_waitcnt vmcnt(0)
	v_cvt_f32_f16_e32 v3, v3
.LBB19_529:
	s_mov_b64 s[0:1], 0
.LBB19_530:
	s_andn2_b64 vcc, exec, s[0:1]
	s_cbranch_vccnz .LBB19_541
; %bb.531:
	s_cmp_lt_i32 s12, 6
	s_cbranch_scc1 .LBB19_534
; %bb.532:
	s_cmp_gt_i32 s12, 6
	s_cbranch_scc0 .LBB19_535
; %bb.533:
	global_load_dwordx2 v[3:4], v[1:2], off
	s_mov_b64 s[0:1], 0
	s_waitcnt vmcnt(0)
	v_cvt_f32_f64_e32 v3, v[3:4]
	s_branch .LBB19_536
.LBB19_534:
	s_mov_b64 s[0:1], -1
                                        ; implicit-def: $vgpr3
	s_branch .LBB19_539
.LBB19_535:
	s_mov_b64 s[0:1], -1
                                        ; implicit-def: $vgpr3
.LBB19_536:
	s_andn2_b64 vcc, exec, s[0:1]
	s_cbranch_vccnz .LBB19_538
; %bb.537:
	global_load_dword v3, v[1:2], off
.LBB19_538:
	s_mov_b64 s[0:1], 0
.LBB19_539:
	s_andn2_b64 vcc, exec, s[0:1]
	s_cbranch_vccnz .LBB19_541
; %bb.540:
	global_load_ushort v3, v[1:2], off
	s_waitcnt vmcnt(0)
	v_cvt_f32_f16_e32 v3, v3
.LBB19_541:
	s_mov_b64 s[0:1], 0
.LBB19_542:
	s_andn2_b64 vcc, exec, s[0:1]
	s_cbranch_vccnz .LBB19_562
; %bb.543:
	s_cmp_lt_i32 s12, 2
	s_cbranch_scc1 .LBB19_547
; %bb.544:
	s_cmp_lt_i32 s12, 3
	s_cbranch_scc1 .LBB19_548
; %bb.545:
	s_cmp_gt_i32 s12, 3
	s_cbranch_scc0 .LBB19_549
; %bb.546:
	global_load_dwordx2 v[3:4], v[1:2], off
	s_mov_b64 s[0:1], 0
	s_waitcnt vmcnt(0)
	v_xor_b32_e32 v6, v3, v4
	v_ffbh_i32_e32 v5, v4
	v_ashrrev_i32_e32 v6, 31, v6
	v_add_u32_e32 v5, -1, v5
	v_add_u32_e32 v6, 32, v6
	v_min_u32_e32 v5, v5, v6
	v_lshlrev_b64 v[3:4], v5, v[3:4]
	v_min_u32_e32 v3, 1, v3
	v_or_b32_e32 v3, v4, v3
	v_cvt_f32_i32_e32 v3, v3
	v_sub_u32_e32 v4, 32, v5
	v_ldexp_f32 v3, v3, v4
	s_branch .LBB19_550
.LBB19_547:
	s_mov_b64 s[0:1], -1
                                        ; implicit-def: $vgpr3
	s_branch .LBB19_556
.LBB19_548:
	s_mov_b64 s[0:1], -1
                                        ; implicit-def: $vgpr3
	s_branch .LBB19_553
.LBB19_549:
	s_mov_b64 s[0:1], -1
                                        ; implicit-def: $vgpr3
.LBB19_550:
	s_andn2_b64 vcc, exec, s[0:1]
	s_cbranch_vccnz .LBB19_552
; %bb.551:
	global_load_dword v3, v[1:2], off
	s_waitcnt vmcnt(0)
	v_cvt_f32_i32_e32 v3, v3
.LBB19_552:
	s_mov_b64 s[0:1], 0
.LBB19_553:
	s_andn2_b64 vcc, exec, s[0:1]
	s_cbranch_vccnz .LBB19_555
; %bb.554:
	global_load_sshort v3, v[1:2], off
	s_waitcnt vmcnt(0)
	v_cvt_f32_i32_e32 v3, v3
.LBB19_555:
	s_mov_b64 s[0:1], 0
.LBB19_556:
	s_andn2_b64 vcc, exec, s[0:1]
	s_cbranch_vccnz .LBB19_562
; %bb.557:
	s_cmp_gt_i32 s12, 0
	s_cbranch_scc0 .LBB19_559
; %bb.558:
	global_load_sbyte v3, v[1:2], off
	s_mov_b64 s[0:1], 0
	s_waitcnt vmcnt(0)
	v_cvt_f32_i32_e32 v3, v3
	s_branch .LBB19_560
.LBB19_559:
	s_mov_b64 s[0:1], -1
                                        ; implicit-def: $vgpr3
.LBB19_560:
	s_andn2_b64 vcc, exec, s[0:1]
	s_cbranch_vccnz .LBB19_562
; %bb.561:
	global_load_ubyte v1, v[1:2], off
	s_waitcnt vmcnt(0)
	v_cvt_f32_ubyte0_e32 v3, v1
.LBB19_562:
	s_branch .LBB19_306
.LBB19_563:
	s_mov_b64 s[8:9], 0
	s_mov_b64 s[0:1], s[52:53]
.LBB19_564:
                                        ; implicit-def: $vgpr8
.LBB19_565:
	s_andn2_b64 s[10:11], s[52:53], exec
	s_and_b64 s[0:1], s[0:1], exec
	s_or_b64 s[60:61], s[10:11], s[0:1]
	s_andn2_b64 s[0:1], s[54:55], exec
	s_and_b64 s[2:3], s[2:3], exec
	s_or_b64 s[58:59], s[0:1], s[2:3]
	s_orn2_b64 s[0:1], s[8:9], exec
.LBB19_566:
	s_or_b64 exec, exec, s[62:63]
	s_mov_b64 s[2:3], 0
	s_mov_b64 s[8:9], 0
	;; [unrolled: 1-line block ×3, first 2 shown]
                                        ; implicit-def: $vgpr1_vgpr2
                                        ; implicit-def: $vgpr0
                                        ; implicit-def: $vgpr5
	s_and_saveexec_b64 s[62:63], s[0:1]
	s_cbranch_execz .LBB19_953
; %bb.567:
	v_cmp_gt_i32_e32 vcc, s70, v8
	s_mov_b64 s[2:3], -1
	s_mov_b64 s[66:67], s[58:59]
	s_mov_b64 s[68:69], s[60:61]
	s_and_saveexec_b64 s[64:65], vcc
	s_cbranch_execz .LBB19_853
; %bb.568:
	s_andn2_b64 vcc, exec, s[40:41]
	s_cbranch_vccnz .LBB19_573
; %bb.569:
	s_andn2_b64 vcc, exec, s[50:51]
	s_cbranch_vccnz .LBB19_574
; %bb.570:
	s_add_i32 s76, s75, 1
	s_cmp_eq_u32 s72, 2
	s_cbranch_scc1 .LBB19_575
; %bb.571:
	s_and_b32 s71, s76, 28
	v_mov_b32_e32 v2, 0
	s_mov_b32 s77, 0
	s_mov_b64 s[66:67], s[34:35]
	s_mov_b64 s[68:69], s[48:49]
	v_mov_b32_e32 v0, 0
	v_mov_b32_e32 v1, v8
.LBB19_572:                             ; =>This Inner Loop Header: Depth=1
	s_load_dwordx8 s[16:23], s[66:67], 0x4
	s_load_dwordx4 s[0:3], s[66:67], 0x24
	s_load_dwordx8 s[8:15], s[68:69], 0x0
	s_add_u32 s66, s66, 48
	s_addc_u32 s67, s67, 0
	s_waitcnt vmcnt(0) lgkmcnt(0)
	v_mul_hi_u32 v3, s17, v1
	s_add_i32 s77, s77, 4
	s_add_u32 s68, s68, 32
	s_addc_u32 s69, s69, 0
	v_add_u32_e32 v3, v1, v3
	v_lshrrev_b32_e32 v3, s18, v3
	v_mul_lo_u32 v4, v3, s16
	v_mul_hi_u32 v5, s20, v3
	s_cmp_eq_u32 s71, s77
	v_sub_u32_e32 v1, v1, v4
	v_add_u32_e32 v4, v3, v5
	v_mul_lo_u32 v5, v1, s8
	v_mul_lo_u32 v6, v1, s9
	v_lshrrev_b32_e32 v1, s21, v4
	v_mul_lo_u32 v4, v1, s19
	v_mul_hi_u32 v7, s23, v1
	v_sub_u32_e32 v3, v3, v4
	v_add_u32_e32 v4, v1, v7
	v_lshrrev_b32_e32 v4, s0, v4
	v_mul_hi_u32 v9, s2, v4
	v_mul_lo_u32 v10, v4, s22
	v_mul_lo_u32 v7, v3, s10
	;; [unrolled: 1-line block ×3, first 2 shown]
	v_sub_u32_e32 v10, v1, v10
	v_add_u32_e32 v1, v4, v9
	v_lshrrev_b32_e32 v1, s3, v1
	v_mul_lo_u32 v9, v1, s1
	v_mul_lo_u32 v11, v10, s12
	;; [unrolled: 1-line block ×3, first 2 shown]
	v_add3_u32 v0, v5, v0, v7
	v_sub_u32_e32 v4, v4, v9
	v_mul_lo_u32 v9, v4, s14
	v_mul_lo_u32 v4, v4, s15
	v_add3_u32 v2, v6, v2, v3
	v_add3_u32 v0, v11, v0, v9
	;; [unrolled: 1-line block ×3, first 2 shown]
	s_cbranch_scc0 .LBB19_572
	s_branch .LBB19_576
.LBB19_573:
	s_mov_b64 s[0:1], -1
                                        ; implicit-def: $vgpr0
                                        ; implicit-def: $vgpr2
	s_branch .LBB19_580
.LBB19_574:
	v_mov_b32_e32 v0, 0
	v_mov_b32_e32 v2, 0
	s_branch .LBB19_579
.LBB19_575:
	s_mov_b32 s71, 0
	v_mov_b32_e32 v0, 0
	v_mov_b32_e32 v2, 0
	;; [unrolled: 1-line block ×3, first 2 shown]
.LBB19_576:
	s_and_b32 s8, s76, 3
	s_cmp_eq_u32 s8, 0
	s_cbranch_scc1 .LBB19_579
; %bb.577:
	s_lshl_b32 s0, s71, 3
	s_add_u32 s0, s34, s0
	s_addc_u32 s1, s35, 0
	s_add_u32 s0, s0, 0xc4
	s_addc_u32 s1, s1, 0
	s_mul_i32 s2, s71, 12
	s_add_u32 s2, s34, s2
	s_addc_u32 s3, s35, 0
.LBB19_578:                             ; =>This Inner Loop Header: Depth=1
	s_load_dwordx2 s[10:11], s[2:3], 0x4
	s_load_dword s9, s[2:3], 0xc
	s_load_dwordx2 s[12:13], s[0:1], 0x0
	s_add_u32 s2, s2, 12
	s_addc_u32 s3, s3, 0
	s_waitcnt vmcnt(0) lgkmcnt(0)
	v_mul_hi_u32 v3, s11, v1
	s_add_u32 s0, s0, 8
	s_addc_u32 s1, s1, 0
	s_add_i32 s8, s8, -1
	v_add_u32_e32 v3, v1, v3
	v_lshrrev_b32_e32 v4, s9, v3
	v_mul_lo_u32 v3, v4, s10
	s_cmp_lg_u32 s8, 0
	v_sub_u32_e32 v3, v1, v3
	v_mad_u64_u32 v[0:1], s[10:11], v3, s12, v[0:1]
	v_mad_u64_u32 v[2:3], s[10:11], v3, s13, v[2:3]
	v_mov_b32_e32 v1, v4
	s_cbranch_scc1 .LBB19_578
.LBB19_579:
	s_mov_b64 s[0:1], 0
.LBB19_580:
	s_andn2_b64 vcc, exec, s[0:1]
	s_cbranch_vccnz .LBB19_583
; %bb.581:
	s_waitcnt lgkmcnt(0)
	v_mul_hi_u32 v0, s37, v8
	s_andn2_b64 vcc, exec, s[46:47]
	v_add_u32_e32 v0, v8, v0
	v_lshrrev_b32_e32 v1, s38, v0
	v_mul_lo_u32 v0, v1, s36
	v_sub_u32_e32 v2, v8, v0
	v_mul_lo_u32 v0, v2, s28
	v_mul_lo_u32 v2, v2, s29
	s_cbranch_vccnz .LBB19_583
; %bb.582:
	s_waitcnt vmcnt(0)
	v_mul_hi_u32 v3, s44, v1
	v_add_u32_e32 v3, v1, v3
	v_lshrrev_b32_e32 v3, s45, v3
	v_mul_lo_u32 v3, v3, s39
	v_sub_u32_e32 v3, v1, v3
	v_mad_u64_u32 v[0:1], s[0:1], v3, s30, v[0:1]
	v_mad_u64_u32 v[2:3], s[0:1], v3, s31, v[2:3]
.LBB19_583:
	s_waitcnt vmcnt(0) lgkmcnt(0)
	v_mov_b32_e32 v3, s27
	s_and_b32 s12, 0xffff, s74
	v_add_co_u32_e32 v1, vcc, s26, v2
	s_cmp_lt_i32 s12, 11
	v_addc_co_u32_e32 v2, vcc, 0, v3, vcc
	s_cbranch_scc1 .LBB19_590
; %bb.584:
	s_cmp_gt_i32 s12, 25
	s_cbranch_scc0 .LBB19_591
; %bb.585:
	s_cmp_gt_i32 s12, 28
	s_cbranch_scc0 .LBB19_592
	;; [unrolled: 3-line block ×4, first 2 shown]
; %bb.588:
	s_cmp_eq_u32 s12, 46
	s_mov_b64 s[8:9], 0
	s_cbranch_scc0 .LBB19_599
; %bb.589:
	global_load_dword v3, v[1:2], off
	s_mov_b64 s[0:1], -1
	s_mov_b64 s[2:3], 0
	s_waitcnt vmcnt(0)
	v_lshlrev_b32_e32 v3, 16, v3
	s_branch .LBB19_600
.LBB19_590:
	s_mov_b64 s[8:9], -1
	s_mov_b64 s[0:1], 0
                                        ; implicit-def: $vgpr3
	s_mov_b64 s[2:3], s[58:59]
	s_branch .LBB19_665
.LBB19_591:
	s_mov_b64 s[8:9], -1
	s_mov_b64 s[0:1], 0
	s_mov_b64 s[2:3], s[58:59]
                                        ; implicit-def: $vgpr3
	s_branch .LBB19_629
.LBB19_592:
	s_mov_b64 s[8:9], -1
	s_mov_b64 s[0:1], 0
	s_mov_b64 s[2:3], s[58:59]
                                        ; implicit-def: $vgpr3
	s_branch .LBB19_610
.LBB19_593:
	s_mov_b64 s[8:9], -1
	s_mov_b64 s[0:1], 0
	s_mov_b64 s[2:3], s[58:59]
                                        ; implicit-def: $vgpr3
	s_branch .LBB19_605
.LBB19_594:
	s_andn2_saveexec_b64 s[12:13], s[12:13]
	s_cbranch_execz .LBB19_363
.LBB19_595:
	s_mov_b32 s16, 0x46000000
	v_add_f32_e64 v0, |v1|, s16
	v_and_b32_e32 v0, 0xff, v0
	v_cmp_ne_u32_e32 vcc, 0, v0
	s_andn2_b64 s[10:11], s[10:11], exec
	s_and_b64 s[16:17], vcc, exec
	s_or_b64 s[10:11], s[10:11], s[16:17]
	s_or_b64 exec, exec, s[12:13]
	v_mov_b32_e32 v2, 0
	s_and_saveexec_b64 s[12:13], s[10:11]
	s_cbranch_execnz .LBB19_364
	s_branch .LBB19_365
.LBB19_596:
	s_mov_b64 s[8:9], -1
	s_mov_b64 s[0:1], 0
	s_mov_b64 s[2:3], s[58:59]
                                        ; implicit-def: $vgpr3
	s_branch .LBB19_600
.LBB19_597:
	s_andn2_saveexec_b64 s[12:13], s[12:13]
	s_cbranch_execz .LBB19_376
.LBB19_598:
	s_mov_b32 s16, 0x42800000
	v_add_f32_e64 v0, |v1|, s16
	v_and_b32_e32 v0, 0xff, v0
	v_cmp_ne_u32_e32 vcc, 0, v0
	s_andn2_b64 s[10:11], s[10:11], exec
	s_and_b64 s[16:17], vcc, exec
	s_or_b64 s[10:11], s[10:11], s[16:17]
	s_or_b64 exec, exec, s[12:13]
	v_mov_b32_e32 v2, 0
	s_and_saveexec_b64 s[12:13], s[10:11]
	s_cbranch_execnz .LBB19_377
	s_branch .LBB19_378
.LBB19_599:
	s_mov_b64 s[2:3], -1
                                        ; implicit-def: $vgpr3
	s_mov_b64 s[0:1], 0
.LBB19_600:
	s_and_b64 vcc, exec, s[8:9]
	s_cbranch_vccz .LBB19_604
; %bb.601:
	s_cmp_eq_u32 s12, 44
	s_cbranch_scc0 .LBB19_603
; %bb.602:
	global_load_ubyte v3, v[1:2], off
	s_movk_i32 s2, 0xff
	v_mov_b32_e32 v4, 0x7f800001
	v_mov_b32_e32 v5, 0x400000
	s_mov_b64 s[0:1], -1
	s_waitcnt vmcnt(0)
	v_lshlrev_b32_e32 v6, 23, v3
	v_cmp_ne_u32_e32 vcc, s2, v3
	v_cndmask_b32_e32 v4, v4, v6, vcc
	v_cmp_ne_u32_e32 vcc, 0, v3
	v_cndmask_b32_e32 v3, v5, v4, vcc
	s_mov_b64 s[2:3], 0
	s_branch .LBB19_604
.LBB19_603:
	s_mov_b64 s[2:3], -1
                                        ; implicit-def: $vgpr3
.LBB19_604:
	s_mov_b64 s[8:9], 0
.LBB19_605:
	s_and_b64 vcc, exec, s[8:9]
	s_cbranch_vccz .LBB19_609
; %bb.606:
	s_cmp_eq_u32 s12, 29
	s_cbranch_scc0 .LBB19_608
; %bb.607:
	global_load_dwordx2 v[3:4], v[1:2], off
	s_mov_b64 s[0:1], -1
	s_mov_b64 s[2:3], 0
	s_mov_b64 s[8:9], 0
	s_waitcnt vmcnt(0)
	v_ffbh_u32_e32 v5, v4
	v_min_u32_e32 v5, 32, v5
	v_lshlrev_b64 v[3:4], v5, v[3:4]
	v_min_u32_e32 v3, 1, v3
	v_or_b32_e32 v3, v4, v3
	v_cvt_f32_u32_e32 v3, v3
	v_sub_u32_e32 v4, 32, v5
	v_ldexp_f32 v3, v3, v4
	s_branch .LBB19_610
.LBB19_608:
	s_mov_b64 s[2:3], -1
                                        ; implicit-def: $vgpr3
.LBB19_609:
	s_mov_b64 s[8:9], 0
.LBB19_610:
	s_and_b64 vcc, exec, s[8:9]
	s_cbranch_vccz .LBB19_628
; %bb.611:
	s_cmp_lt_i32 s12, 27
	s_cbranch_scc1 .LBB19_614
; %bb.612:
	s_cmp_gt_i32 s12, 27
	s_cbranch_scc0 .LBB19_615
; %bb.613:
	global_load_dword v3, v[1:2], off
	s_mov_b64 s[0:1], 0
	s_waitcnt vmcnt(0)
	v_cvt_f32_u32_e32 v3, v3
	s_branch .LBB19_616
.LBB19_614:
	s_mov_b64 s[0:1], -1
                                        ; implicit-def: $vgpr3
	s_branch .LBB19_619
.LBB19_615:
	s_mov_b64 s[0:1], -1
                                        ; implicit-def: $vgpr3
.LBB19_616:
	s_andn2_b64 vcc, exec, s[0:1]
	s_cbranch_vccnz .LBB19_618
; %bb.617:
	global_load_ushort v3, v[1:2], off
	s_waitcnt vmcnt(0)
	v_cvt_f32_u32_e32 v3, v3
.LBB19_618:
	s_mov_b64 s[0:1], 0
.LBB19_619:
	s_andn2_b64 vcc, exec, s[0:1]
	s_cbranch_vccnz .LBB19_627
; %bb.620:
	global_load_ubyte v4, v[1:2], off
	s_movk_i32 s0, 0x7f
	s_waitcnt vmcnt(0)
	v_cmp_lt_i16_e32 vcc, s0, v4
	s_mov_b64 s[0:1], 0
	s_and_saveexec_b64 s[8:9], vcc
	s_xor_b64 s[8:9], exec, s[8:9]
	s_cbranch_execz .LBB19_641
; %bb.621:
	s_movk_i32 s0, 0x80
	v_cmp_eq_u16_e32 vcc, s0, v4
	s_mov_b64 s[0:1], -1
	s_and_saveexec_b64 s[10:11], vcc
; %bb.622:
	s_xor_b64 s[0:1], exec, -1
; %bb.623:
	s_or_b64 exec, exec, s[10:11]
	s_and_b64 s[0:1], s[0:1], exec
	s_or_saveexec_b64 s[8:9], s[8:9]
	v_mov_b32_e32 v3, 0x7f800001
	s_xor_b64 exec, exec, s[8:9]
	s_cbranch_execnz .LBB19_642
.LBB19_624:
	s_or_b64 exec, exec, s[8:9]
	s_and_saveexec_b64 s[8:9], s[0:1]
	s_cbranch_execz .LBB19_626
.LBB19_625:
	v_lshlrev_b32_e32 v3, 24, v4
	v_and_b32_e32 v4, 0xffff, v4
	v_and_b32_e32 v5, 7, v4
	v_ffbh_u32_e32 v7, v5
	v_min_u32_e32 v7, 32, v7
	v_subrev_u32_e32 v9, 28, v7
	v_bfe_u32 v6, v4, 3, 4
	v_lshlrev_b32_e32 v4, v9, v4
	v_sub_u32_e32 v7, 29, v7
	v_and_b32_e32 v4, 7, v4
	v_cmp_eq_u32_e32 vcc, 0, v6
	v_cndmask_b32_e32 v6, v6, v7, vcc
	v_cndmask_b32_e32 v4, v5, v4, vcc
	v_mov_b32_e32 v5, 0x3b800000
	v_lshlrev_b32_e32 v4, 20, v4
	v_and_b32_e32 v3, 0x80000000, v3
	v_lshl_add_u32 v5, v6, 23, v5
	v_or3_b32 v3, v3, v5, v4
.LBB19_626:
	s_or_b64 exec, exec, s[8:9]
.LBB19_627:
	s_mov_b64 s[0:1], -1
.LBB19_628:
	s_mov_b64 s[8:9], 0
.LBB19_629:
	s_and_b64 vcc, exec, s[8:9]
	s_cbranch_vccz .LBB19_664
; %bb.630:
	s_cmp_gt_i32 s12, 22
	s_cbranch_scc0 .LBB19_640
; %bb.631:
	s_cmp_lt_i32 s12, 24
	s_cbranch_scc1 .LBB19_643
; %bb.632:
	s_cmp_gt_i32 s12, 24
	s_cbranch_scc0 .LBB19_644
; %bb.633:
	global_load_ubyte v4, v[1:2], off
	s_movk_i32 s0, 0x7f
	s_waitcnt vmcnt(0)
	v_cmp_lt_i16_e32 vcc, s0, v4
	s_mov_b64 s[0:1], 0
	s_and_saveexec_b64 s[8:9], vcc
	s_xor_b64 s[8:9], exec, s[8:9]
	s_cbranch_execz .LBB19_656
; %bb.634:
	s_movk_i32 s0, 0x80
	v_cmp_eq_u16_e32 vcc, s0, v4
	s_mov_b64 s[0:1], -1
	s_and_saveexec_b64 s[10:11], vcc
; %bb.635:
	s_xor_b64 s[0:1], exec, -1
; %bb.636:
	s_or_b64 exec, exec, s[10:11]
	s_and_b64 s[0:1], s[0:1], exec
	s_or_saveexec_b64 s[8:9], s[8:9]
	v_mov_b32_e32 v3, 0x7f800001
	s_xor_b64 exec, exec, s[8:9]
	s_cbranch_execnz .LBB19_657
.LBB19_637:
	s_or_b64 exec, exec, s[8:9]
	s_and_saveexec_b64 s[8:9], s[0:1]
	s_cbranch_execz .LBB19_639
.LBB19_638:
	v_lshlrev_b32_e32 v3, 24, v4
	v_and_b32_e32 v4, 0xffff, v4
	v_and_b32_e32 v5, 3, v4
	v_ffbh_u32_e32 v7, v5
	v_min_u32_e32 v7, 32, v7
	v_subrev_u32_e32 v9, 29, v7
	v_bfe_u32 v6, v4, 2, 5
	v_lshlrev_b32_e32 v4, v9, v4
	v_sub_u32_e32 v7, 30, v7
	v_and_b32_e32 v4, 3, v4
	v_cmp_eq_u32_e32 vcc, 0, v6
	v_cndmask_b32_e32 v6, v6, v7, vcc
	v_cndmask_b32_e32 v4, v5, v4, vcc
	v_mov_b32_e32 v5, 0x37800000
	v_lshlrev_b32_e32 v4, 21, v4
	v_and_b32_e32 v3, 0x80000000, v3
	v_lshl_add_u32 v5, v6, 23, v5
	v_or3_b32 v3, v3, v5, v4
.LBB19_639:
	s_or_b64 exec, exec, s[8:9]
	s_mov_b64 s[0:1], 0
	s_branch .LBB19_645
.LBB19_640:
	s_mov_b64 s[8:9], -1
                                        ; implicit-def: $vgpr3
	s_branch .LBB19_651
.LBB19_641:
	s_or_saveexec_b64 s[8:9], s[8:9]
	v_mov_b32_e32 v3, 0x7f800001
	s_xor_b64 exec, exec, s[8:9]
	s_cbranch_execz .LBB19_624
.LBB19_642:
	v_cmp_ne_u16_e32 vcc, 0, v4
	s_andn2_b64 s[0:1], s[0:1], exec
	s_and_b64 s[10:11], vcc, exec
	v_mov_b32_e32 v3, 0
	s_or_b64 s[0:1], s[0:1], s[10:11]
	s_or_b64 exec, exec, s[8:9]
	s_and_saveexec_b64 s[8:9], s[0:1]
	s_cbranch_execnz .LBB19_625
	s_branch .LBB19_626
.LBB19_643:
	s_mov_b64 s[0:1], -1
                                        ; implicit-def: $vgpr3
	s_branch .LBB19_648
.LBB19_644:
	s_mov_b64 s[0:1], -1
                                        ; implicit-def: $vgpr3
.LBB19_645:
	s_and_b64 vcc, exec, s[0:1]
	s_cbranch_vccz .LBB19_647
; %bb.646:
	global_load_ubyte v3, v[1:2], off
	s_mov_b32 s0, 0x7f800000
	s_waitcnt vmcnt(0)
	v_lshlrev_b32_e32 v3, 24, v3
	v_and_b32_e32 v4, 0x7f000000, v3
	v_ffbh_u32_e32 v5, v4
	v_min_u32_e32 v5, 32, v5
	v_sub_u32_e64 v5, v5, 4 clamp
	v_lshlrev_b32_e32 v7, v5, v4
	v_lshlrev_b32_e32 v5, 23, v5
	v_lshrrev_b32_e32 v7, 4, v7
	v_add_u32_e32 v6, 0x1000000, v4
	v_sub_u32_e32 v5, v7, v5
	v_ashrrev_i32_e32 v6, 8, v6
	v_add_u32_e32 v5, 0x3c000000, v5
	v_and_or_b32 v5, v6, s0, v5
	v_cmp_ne_u32_e32 vcc, 0, v4
	v_cndmask_b32_e32 v4, 0, v5, vcc
	s_brev_b32 s0, 1
	v_and_or_b32 v3, v3, s0, v4
.LBB19_647:
	s_mov_b64 s[0:1], 0
.LBB19_648:
	s_andn2_b64 vcc, exec, s[0:1]
	s_cbranch_vccnz .LBB19_650
; %bb.649:
	global_load_ubyte v3, v[1:2], off
	s_movk_i32 s0, 0x7f00
	s_brev_b32 s1, 16
	s_waitcnt vmcnt(0)
	v_lshlrev_b16_e32 v4, 8, v3
	v_lshlrev_b32_e32 v3, 25, v3
	v_lshrrev_b32_e32 v5, 4, v3
	v_and_or_b32 v6, v4, s0, 0.5
	v_or_b32_e32 v5, 0x70000000, v5
	v_add_f32_e32 v6, -0.5, v6
	v_mul_f32_e32 v5, 0x7800000, v5
	v_cmp_gt_u32_e32 vcc, s1, v3
	v_bfe_i32 v4, v4, 0, 16
	v_cndmask_b32_e32 v3, v5, v6, vcc
	s_brev_b32 s0, 1
	v_and_or_b32 v3, v4, s0, v3
.LBB19_650:
	s_mov_b64 s[8:9], 0
	s_mov_b64 s[0:1], -1
.LBB19_651:
	s_andn2_b64 vcc, exec, s[8:9]
	s_cbranch_vccnz .LBB19_664
; %bb.652:
	s_cmp_gt_i32 s12, 14
	s_cbranch_scc0 .LBB19_655
; %bb.653:
	s_cmp_eq_u32 s12, 15
	s_cbranch_scc0 .LBB19_658
; %bb.654:
	global_load_ushort v3, v[1:2], off
	s_mov_b64 s[0:1], -1
	s_mov_b64 s[2:3], 0
	s_waitcnt vmcnt(0)
	v_lshlrev_b32_e32 v3, 16, v3
	s_branch .LBB19_659
.LBB19_655:
	s_mov_b64 s[8:9], -1
                                        ; implicit-def: $vgpr3
	s_branch .LBB19_660
.LBB19_656:
	s_or_saveexec_b64 s[8:9], s[8:9]
	v_mov_b32_e32 v3, 0x7f800001
	s_xor_b64 exec, exec, s[8:9]
	s_cbranch_execz .LBB19_637
.LBB19_657:
	v_cmp_ne_u16_e32 vcc, 0, v4
	s_andn2_b64 s[0:1], s[0:1], exec
	s_and_b64 s[10:11], vcc, exec
	v_mov_b32_e32 v3, 0
	s_or_b64 s[0:1], s[0:1], s[10:11]
	s_or_b64 exec, exec, s[8:9]
	s_and_saveexec_b64 s[8:9], s[0:1]
	s_cbranch_execnz .LBB19_638
	s_branch .LBB19_639
.LBB19_658:
	s_mov_b64 s[2:3], -1
                                        ; implicit-def: $vgpr3
.LBB19_659:
	s_mov_b64 s[8:9], 0
.LBB19_660:
	s_and_b64 vcc, exec, s[8:9]
	s_cbranch_vccz .LBB19_664
; %bb.661:
	s_cmp_eq_u32 s12, 11
	s_cbranch_scc0 .LBB19_663
; %bb.662:
	global_load_ubyte v3, v[1:2], off
	s_mov_b64 s[0:1], -1
	s_mov_b64 s[2:3], 0
	s_waitcnt vmcnt(0)
	v_cmp_ne_u16_e32 vcc, 0, v3
	v_cndmask_b32_e64 v3, 0, 1.0, vcc
	s_branch .LBB19_664
.LBB19_663:
	s_mov_b64 s[2:3], -1
                                        ; implicit-def: $vgpr3
.LBB19_664:
	s_mov_b64 s[8:9], 0
.LBB19_665:
	s_and_b64 vcc, exec, s[8:9]
	s_cbranch_vccz .LBB19_714
; %bb.666:
	s_cmp_lt_i32 s12, 5
	s_cbranch_scc1 .LBB19_671
; %bb.667:
	s_cmp_lt_i32 s12, 8
	s_cbranch_scc1 .LBB19_672
	;; [unrolled: 3-line block ×3, first 2 shown]
; %bb.669:
	s_cmp_gt_i32 s12, 9
	s_cbranch_scc0 .LBB19_674
; %bb.670:
	global_load_dwordx2 v[3:4], v[1:2], off
	s_mov_b64 s[0:1], 0
	s_waitcnt vmcnt(0)
	v_cvt_f32_f64_e32 v3, v[3:4]
	s_branch .LBB19_675
.LBB19_671:
	s_mov_b64 s[0:1], -1
                                        ; implicit-def: $vgpr3
	s_branch .LBB19_693
.LBB19_672:
	s_mov_b64 s[0:1], -1
                                        ; implicit-def: $vgpr3
	s_branch .LBB19_681
.LBB19_673:
	s_mov_b64 s[0:1], -1
                                        ; implicit-def: $vgpr3
	s_branch .LBB19_678
.LBB19_674:
	s_mov_b64 s[0:1], -1
                                        ; implicit-def: $vgpr3
.LBB19_675:
	s_andn2_b64 vcc, exec, s[0:1]
	s_cbranch_vccnz .LBB19_677
; %bb.676:
	global_load_dword v3, v[1:2], off
.LBB19_677:
	s_mov_b64 s[0:1], 0
.LBB19_678:
	s_andn2_b64 vcc, exec, s[0:1]
	s_cbranch_vccnz .LBB19_680
; %bb.679:
	global_load_dword v3, v[1:2], off
	s_waitcnt vmcnt(0)
	v_cvt_f32_f16_e32 v3, v3
.LBB19_680:
	s_mov_b64 s[0:1], 0
.LBB19_681:
	s_andn2_b64 vcc, exec, s[0:1]
	s_cbranch_vccnz .LBB19_692
; %bb.682:
	s_cmp_lt_i32 s12, 6
	s_cbranch_scc1 .LBB19_685
; %bb.683:
	s_cmp_gt_i32 s12, 6
	s_cbranch_scc0 .LBB19_686
; %bb.684:
	global_load_dwordx2 v[3:4], v[1:2], off
	s_mov_b64 s[0:1], 0
	s_waitcnt vmcnt(0)
	v_cvt_f32_f64_e32 v3, v[3:4]
	s_branch .LBB19_687
.LBB19_685:
	s_mov_b64 s[0:1], -1
                                        ; implicit-def: $vgpr3
	s_branch .LBB19_690
.LBB19_686:
	s_mov_b64 s[0:1], -1
                                        ; implicit-def: $vgpr3
.LBB19_687:
	s_andn2_b64 vcc, exec, s[0:1]
	s_cbranch_vccnz .LBB19_689
; %bb.688:
	global_load_dword v3, v[1:2], off
.LBB19_689:
	s_mov_b64 s[0:1], 0
.LBB19_690:
	s_andn2_b64 vcc, exec, s[0:1]
	s_cbranch_vccnz .LBB19_692
; %bb.691:
	global_load_ushort v3, v[1:2], off
	s_waitcnt vmcnt(0)
	v_cvt_f32_f16_e32 v3, v3
.LBB19_692:
	s_mov_b64 s[0:1], 0
.LBB19_693:
	s_andn2_b64 vcc, exec, s[0:1]
	s_cbranch_vccnz .LBB19_713
; %bb.694:
	s_cmp_lt_i32 s12, 2
	s_cbranch_scc1 .LBB19_698
; %bb.695:
	s_cmp_lt_i32 s12, 3
	s_cbranch_scc1 .LBB19_699
; %bb.696:
	s_cmp_gt_i32 s12, 3
	s_cbranch_scc0 .LBB19_700
; %bb.697:
	global_load_dwordx2 v[3:4], v[1:2], off
	s_mov_b64 s[0:1], 0
	s_waitcnt vmcnt(0)
	v_xor_b32_e32 v6, v3, v4
	v_ffbh_i32_e32 v5, v4
	v_ashrrev_i32_e32 v6, 31, v6
	v_add_u32_e32 v5, -1, v5
	v_add_u32_e32 v6, 32, v6
	v_min_u32_e32 v5, v5, v6
	v_lshlrev_b64 v[3:4], v5, v[3:4]
	v_min_u32_e32 v3, 1, v3
	v_or_b32_e32 v3, v4, v3
	v_cvt_f32_i32_e32 v3, v3
	v_sub_u32_e32 v4, 32, v5
	v_ldexp_f32 v3, v3, v4
	s_branch .LBB19_701
.LBB19_698:
	s_mov_b64 s[0:1], -1
                                        ; implicit-def: $vgpr3
	s_branch .LBB19_707
.LBB19_699:
	s_mov_b64 s[0:1], -1
                                        ; implicit-def: $vgpr3
	s_branch .LBB19_704
.LBB19_700:
	s_mov_b64 s[0:1], -1
                                        ; implicit-def: $vgpr3
.LBB19_701:
	s_andn2_b64 vcc, exec, s[0:1]
	s_cbranch_vccnz .LBB19_703
; %bb.702:
	global_load_dword v3, v[1:2], off
	s_waitcnt vmcnt(0)
	v_cvt_f32_i32_e32 v3, v3
.LBB19_703:
	s_mov_b64 s[0:1], 0
.LBB19_704:
	s_andn2_b64 vcc, exec, s[0:1]
	s_cbranch_vccnz .LBB19_706
; %bb.705:
	global_load_sshort v3, v[1:2], off
	s_waitcnt vmcnt(0)
	v_cvt_f32_i32_e32 v3, v3
.LBB19_706:
	s_mov_b64 s[0:1], 0
.LBB19_707:
	s_andn2_b64 vcc, exec, s[0:1]
	s_cbranch_vccnz .LBB19_713
; %bb.708:
	s_cmp_gt_i32 s12, 0
	s_cbranch_scc0 .LBB19_710
; %bb.709:
	global_load_sbyte v3, v[1:2], off
	s_mov_b64 s[0:1], 0
	s_waitcnt vmcnt(0)
	v_cvt_f32_i32_e32 v3, v3
	s_branch .LBB19_711
.LBB19_710:
	s_mov_b64 s[0:1], -1
                                        ; implicit-def: $vgpr3
.LBB19_711:
	s_andn2_b64 vcc, exec, s[0:1]
	s_cbranch_vccnz .LBB19_713
; %bb.712:
	global_load_ubyte v1, v[1:2], off
	s_waitcnt vmcnt(0)
	v_cvt_f32_ubyte0_e32 v3, v1
.LBB19_713:
	s_mov_b64 s[0:1], -1
.LBB19_714:
	s_andn2_b64 vcc, exec, s[0:1]
	s_cbranch_vccnz .LBB19_734
; %bb.715:
	s_mov_b32 s0, 0x41000000
	s_waitcnt vmcnt(0)
	v_cmp_le_f32_e64 s[0:1], |v3|, s0
                                        ; implicit-def: $vgpr1
	s_and_saveexec_b64 s[8:9], s[0:1]
	s_xor_b64 s[8:9], exec, s[8:9]
	s_cbranch_execz .LBB19_721
; %bb.716:
	v_fma_f32 v1, |v3|, 0.5, -2.0
	v_mov_b32_e32 v2, 0xa3c2be86
	v_fmac_f32_e32 v2, 0x224cf950, v1
	v_mov_b32_e32 v4, 0xa24cf950
	v_fmac_f32_e32 v4, v1, v2
	v_add_f32_e32 v4, 0x25331f1f, v4
	v_fma_f32 v2, v1, v4, -v2
	v_add_f32_e32 v2, 0xa69f5554, v2
	v_fma_f32 v4, v1, v2, -v4
	;; [unrolled: 2-line block ×25, first 2 shown]
	v_add_f32_e32 v2, 0xbe34a688, v2
	s_mov_b32 s0, 0x3fb8aa3b
	v_fma_f32 v1, v1, v2, -v4
	v_mul_f32_e64 v2, |v3|, s0
	v_rndne_f32_e32 v5, v2
	v_sub_f32_e32 v6, v2, v5
	v_fma_f32 v2, |v3|, s0, -v2
	s_mov_b32 s0, 0x32a5705f
	v_fma_f32 v2, |v3|, s0, v2
	v_add_f32_e32 v2, v6, v2
	v_exp_f32_e32 v6, v2
	v_cvt_i32_f32_e32 v5, v5
	v_add_f32_e32 v1, 0x3e81531c, v1
	v_sub_f32_e32 v1, v1, v4
	v_mul_f32_e32 v1, 0.5, v1
	s_mov_b32 s0, 0xc2ce8ed0
	v_mul_f32_e64 v2, |v3|, v1
	v_ldexp_f32 v1, v6, v5
	v_cmp_nlt_f32_e64 s[0:1], |v3|, s0
	v_cndmask_b32_e64 v1, 0, v1, s[0:1]
	s_mov_b32 s0, 0x42b17218
	v_mov_b32_e32 v4, 0x7f800000
	v_cmp_ngt_f32_e64 s[0:1], |v3|, s0
	v_cmp_ngt_f32_e32 vcc, 0, v3
	v_cndmask_b32_e64 v3, v4, v1, s[0:1]
                                        ; implicit-def: $vgpr1
	s_and_saveexec_b64 s[0:1], vcc
	s_xor_b64 s[0:1], exec, s[0:1]
; %bb.717:
	v_mul_f32_e32 v1, v3, v2
                                        ; implicit-def: $vgpr3
                                        ; implicit-def: $vgpr2
; %bb.718:
	s_andn2_saveexec_b64 s[0:1], s[0:1]
; %bb.719:
	v_mul_f32_e64 v1, v2, -v3
; %bb.720:
	s_or_b64 exec, exec, s[0:1]
                                        ; implicit-def: $vgpr3
.LBB19_721:
	s_andn2_saveexec_b64 s[8:9], s[8:9]
	s_cbranch_execz .LBB19_727
; %bb.722:
	v_and_b32_e32 v1, 0x7fffffff, v3
	s_mov_b32 s10, 0x42000000
	v_div_scale_f32 v2, s[0:1], v1, v1, s10
	v_div_scale_f32 v1, vcc, s10, v1, s10
	s_mov_b32 s11, 0x3fb8aa3b
	s_mov_b32 s12, 0x32a5705f
	v_mov_b32_e32 v4, 0x22a2dc57
	v_mov_b32_e32 v6, 0xa30aab6e
	v_cmp_ngt_f32_e64 s[0:1], 0, v3
	v_rcp_f32_e32 v5, v2
	v_fma_f32 v7, -v2, v5, 1.0
	v_fmac_f32_e32 v5, v7, v5
	v_mul_f32_e32 v7, v1, v5
	v_fma_f32 v9, -v2, v7, v1
	v_fmac_f32_e32 v7, v9, v5
	v_fma_f32 v1, -v2, v7, v1
	v_div_fmas_f32 v1, v1, v5, v7
	v_mul_f32_e64 v2, |v3|, s11
	v_rndne_f32_e32 v5, v2
	v_fma_f32 v7, |v3|, s11, -v2
	v_sub_f32_e32 v2, v2, v5
	v_fma_f32 v7, |v3|, s12, v7
	v_add_f32_e32 v2, v2, v7
	v_cvt_i32_f32_e32 v5, v5
	v_exp_f32_e32 v2, v2
	s_mov_b32 s11, 0xc2ce8ed0
	s_mov_b32 s12, 0x42b17218
	v_cmp_nlt_f32_e64 vcc, |v3|, s11
	v_ldexp_f32 v2, v2, v5
	v_mov_b32_e32 v7, 0x7f800000
	v_cndmask_b32_e32 v2, 0, v2, vcc
	v_cmp_ngt_f32_e64 vcc, |v3|, s12
	v_div_fixup_f32 v1, v1, |v3|, s10
	v_add_f32_e32 v1, -2.0, v1
	v_fmac_f32_e32 v4, 0x230aab6e, v1
	v_fmac_f32_e32 v6, v1, v4
	v_add_f32_e32 v5, 0xa456751e, v6
	v_fma_f32 v4, v1, v5, -v4
	v_add_f32_e32 v4, 0xa4140365, v4
	v_fma_f32 v5, v1, v4, -v5
	;; [unrolled: 2-line block ×22, first 2 shown]
	v_add_f32_e32 v1, 0x3f4750c6, v1
	v_cndmask_b32_e32 v2, v7, v2, vcc
	v_sub_f32_e32 v4, v1, v5
                                        ; implicit-def: $vgpr1
	s_and_saveexec_b64 s[10:11], s[0:1]
	s_xor_b64 s[10:11], exec, s[10:11]
	s_cbranch_execz .LBB19_724
; %bb.723:
	s_mov_b32 s0, 0xf800000
	s_mov_b32 s1, 0x4f800000
	v_mul_f32_e64 v1, |v3|, s1
	v_cmp_lt_f32_e64 vcc, |v3|, s0
	v_cndmask_b32_e64 v1, |v3|, v1, vcc
	v_sqrt_f32_e32 v3, v1
	v_mul_f32_e32 v4, 0.5, v4
	v_mul_f32_e32 v2, v2, v4
	v_add_u32_e32 v4, -1, v3
	v_fma_f32 v5, -v4, v3, v1
	v_cmp_ge_f32_e64 s[0:1], 0, v5
	v_add_u32_e32 v5, 1, v3
	v_cndmask_b32_e64 v4, v3, v4, s[0:1]
	v_fma_f32 v3, -v5, v3, v1
	v_cmp_lt_f32_e64 s[0:1], 0, v3
	v_cndmask_b32_e64 v3, v4, v5, s[0:1]
	v_mul_f32_e32 v4, 0x37800000, v3
	v_cndmask_b32_e32 v3, v3, v4, vcc
	v_mov_b32_e32 v4, 0x260
	v_cmp_class_f32_e32 vcc, v1, v4
	v_cndmask_b32_e32 v1, v3, v1, vcc
	v_div_scale_f32 v3, s[0:1], v1, v1, v2
	v_div_scale_f32 v4, vcc, v2, v1, v2
	v_rcp_f32_e32 v5, v3
	v_fma_f32 v6, -v3, v5, 1.0
	v_fmac_f32_e32 v5, v6, v5
	v_mul_f32_e32 v6, v4, v5
	v_fma_f32 v7, -v3, v6, v4
	v_fmac_f32_e32 v6, v7, v5
	v_fma_f32 v3, -v3, v6, v4
	v_div_fmas_f32 v3, v3, v5, v6
                                        ; implicit-def: $vgpr4
	v_div_fixup_f32 v1, v3, v1, v2
                                        ; implicit-def: $vgpr3
                                        ; implicit-def: $vgpr2
.LBB19_724:
	s_andn2_saveexec_b64 s[10:11], s[10:11]
	s_cbranch_execz .LBB19_726
; %bb.725:
	s_mov_b32 s0, 0xf800000
	s_mov_b32 s1, 0x4f800000
	v_mul_f32_e64 v1, |v3|, s1
	v_cmp_lt_f32_e64 vcc, |v3|, s0
	v_cndmask_b32_e64 v1, |v3|, v1, vcc
	v_sqrt_f32_e32 v3, v1
	v_add_u32_e32 v5, -1, v3
	v_fma_f32 v6, -v5, v3, v1
	v_cmp_ge_f32_e64 s[0:1], 0, v6
	v_add_u32_e32 v6, 1, v3
	v_cndmask_b32_e64 v5, v3, v5, s[0:1]
	v_fma_f32 v3, -v6, v3, v1
	v_cmp_lt_f32_e64 s[0:1], 0, v3
	v_cndmask_b32_e64 v3, v5, v6, s[0:1]
	v_mul_f32_e32 v5, 0x37800000, v3
	v_cndmask_b32_e32 v3, v3, v5, vcc
	v_mov_b32_e32 v5, 0x260
	v_cmp_class_f32_e32 vcc, v1, v5
	v_cndmask_b32_e32 v1, v3, v1, vcc
	v_mul_f32_e32 v3, -0.5, v4
	v_mul_f32_e32 v2, v2, v3
	v_div_scale_f32 v3, s[0:1], v1, v1, v2
	v_div_scale_f32 v4, vcc, v2, v1, v2
	v_rcp_f32_e32 v5, v3
	v_fma_f32 v6, -v3, v5, 1.0
	v_fmac_f32_e32 v5, v6, v5
	v_mul_f32_e32 v6, v4, v5
	v_fma_f32 v7, -v3, v6, v4
	v_fmac_f32_e32 v6, v7, v5
	v_fma_f32 v3, -v3, v6, v4
	v_div_fmas_f32 v3, v3, v5, v6
	v_div_fixup_f32 v1, v3, v1, v2
.LBB19_726:
	s_or_b64 exec, exec, s[10:11]
.LBB19_727:
	s_or_b64 exec, exec, s[8:9]
	v_mov_b32_e32 v2, s25
	s_and_b32 s14, s73, 0xff
	v_add_co_u32_e32 v3, vcc, s24, v0
	s_cmp_lt_i32 s14, 11
	v_addc_co_u32_e32 v4, vcc, 0, v2, vcc
	s_cbranch_scc1 .LBB19_735
; %bb.728:
	s_and_b32 s15, 0xffff, s14
	s_cmp_gt_i32 s15, 25
	s_cbranch_scc0 .LBB19_736
; %bb.729:
	s_cmp_gt_i32 s15, 28
	s_cbranch_scc0 .LBB19_737
; %bb.730:
	;; [unrolled: 3-line block ×4, first 2 shown]
	s_mov_b64 s[10:11], 0
	s_mov_b64 s[0:1], -1
	s_cmp_eq_u32 s15, 46
	s_mov_b64 s[8:9], 0
	s_cbranch_scc0 .LBB19_740
; %bb.733:
	v_bfe_u32 v0, v1, 16, 1
	s_movk_i32 s0, 0x7fff
	v_add3_u32 v0, v1, v0, s0
	v_cmp_o_f32_e32 vcc, v1, v1
	v_mov_b32_e32 v2, 0x7fc0
	v_cndmask_b32_sdwa v0, v2, v0, vcc dst_sel:DWORD dst_unused:UNUSED_PAD src0_sel:DWORD src1_sel:WORD_1
	global_store_dword v[3:4], v0, off
	s_mov_b64 s[8:9], -1
	s_mov_b64 s[0:1], 0
	s_branch .LBB19_740
.LBB19_734:
	s_mov_b64 s[8:9], 0
	s_mov_b64 s[0:1], s[60:61]
	s_branch .LBB19_851
.LBB19_735:
	s_mov_b64 s[10:11], -1
	s_mov_b64 s[8:9], 0
	s_mov_b64 s[0:1], s[60:61]
	s_branch .LBB19_809
.LBB19_736:
	s_mov_b64 s[10:11], -1
	s_mov_b64 s[8:9], 0
	s_mov_b64 s[0:1], s[60:61]
	s_branch .LBB19_767
.LBB19_737:
	s_mov_b64 s[10:11], -1
	s_mov_b64 s[8:9], 0
	s_mov_b64 s[0:1], s[60:61]
	s_branch .LBB19_750
.LBB19_738:
	s_mov_b64 s[10:11], -1
	s_mov_b64 s[8:9], 0
	s_mov_b64 s[0:1], s[60:61]
	s_branch .LBB19_746
.LBB19_739:
	s_mov_b64 s[10:11], -1
	s_mov_b64 s[8:9], 0
	s_mov_b64 s[0:1], s[60:61]
.LBB19_740:
	s_and_b64 vcc, exec, s[10:11]
	s_cbranch_vccz .LBB19_745
; %bb.741:
	s_cmp_eq_u32 s15, 44
	s_mov_b64 s[0:1], -1
	s_cbranch_scc0 .LBB19_745
; %bb.742:
	v_bfe_u32 v0, v1, 23, 8
	s_movk_i32 s0, 0xff
	v_cmp_ne_u32_e32 vcc, s0, v0
	v_mov_b32_e32 v2, 0xff
	s_and_saveexec_b64 s[8:9], vcc
; %bb.743:
	s_mov_b32 s0, 0x3fffff
	v_and_b32_e32 v5, 0x400000, v1
	v_and_or_b32 v0, v1, s0, v0
	v_cmp_ne_u32_e32 vcc, 0, v5
	v_cmp_ne_u32_e64 s[0:1], 0, v0
	s_and_b64 s[0:1], vcc, s[0:1]
	v_lshrrev_b32_e32 v2, 23, v1
	v_cndmask_b32_e64 v0, 0, 1, s[0:1]
	v_add_u32_e32 v2, v2, v0
; %bb.744:
	s_or_b64 exec, exec, s[8:9]
	s_mov_b64 s[8:9], -1
	s_mov_b64 s[0:1], 0
	global_store_byte v[3:4], v2, off
.LBB19_745:
	s_mov_b64 s[10:11], 0
.LBB19_746:
	s_and_b64 vcc, exec, s[10:11]
	s_cbranch_vccz .LBB19_749
; %bb.747:
	s_cmp_eq_u32 s15, 29
	s_mov_b64 s[0:1], -1
	s_cbranch_scc0 .LBB19_749
; %bb.748:
	v_trunc_f32_e32 v0, v1
	v_mul_f32_e32 v2, 0x2f800000, v0
	v_floor_f32_e32 v2, v2
	v_fmac_f32_e32 v0, 0xcf800000, v2
	v_cvt_u32_f32_e32 v6, v2
	v_cvt_u32_f32_e32 v5, v0
	s_mov_b64 s[8:9], -1
	s_mov_b64 s[0:1], 0
	s_mov_b64 s[10:11], 0
	global_store_dwordx2 v[3:4], v[5:6], off
	s_branch .LBB19_750
.LBB19_749:
	s_mov_b64 s[10:11], 0
.LBB19_750:
	s_and_b64 vcc, exec, s[10:11]
	s_cbranch_vccz .LBB19_766
; %bb.751:
	s_cmp_lt_i32 s15, 27
	s_mov_b64 s[8:9], -1
	s_cbranch_scc1 .LBB19_757
; %bb.752:
	v_cvt_u32_f32_e32 v0, v1
	s_cmp_gt_i32 s15, 27
	s_cbranch_scc0 .LBB19_754
; %bb.753:
	s_mov_b64 s[8:9], 0
	global_store_dword v[3:4], v0, off
.LBB19_754:
	s_andn2_b64 vcc, exec, s[8:9]
	s_cbranch_vccnz .LBB19_756
; %bb.755:
	global_store_short v[3:4], v0, off
.LBB19_756:
	s_mov_b64 s[8:9], 0
.LBB19_757:
	s_andn2_b64 vcc, exec, s[8:9]
	s_cbranch_vccnz .LBB19_765
; %bb.758:
	v_and_b32_e32 v0, 0x7fffffff, v1
	s_mov_b32 s8, 0x43800000
	v_cmp_gt_u32_e32 vcc, s8, v0
	v_mov_b32_e32 v2, 0x80
	s_and_saveexec_b64 s[8:9], vcc
	s_cbranch_execz .LBB19_764
; %bb.759:
	s_mov_b32 s10, 0x3bffffff
	v_cmp_lt_u32_e32 vcc, s10, v0
	s_mov_b64 s[10:11], 0
                                        ; implicit-def: $vgpr0
	s_and_saveexec_b64 s[12:13], vcc
	s_xor_b64 s[12:13], exec, s[12:13]
	s_cbranch_execz .LBB19_881
; %bb.760:
	v_bfe_u32 v0, v1, 20, 1
	s_mov_b32 s16, 0x487ffff
	v_add3_u32 v0, v1, v0, s16
	s_mov_b64 s[10:11], exec
	v_lshrrev_b32_e32 v0, 20, v0
	s_andn2_saveexec_b64 s[12:13], s[12:13]
	s_cbranch_execnz .LBB19_882
.LBB19_761:
	s_or_b64 exec, exec, s[12:13]
	v_mov_b32_e32 v2, 0
	s_and_saveexec_b64 s[12:13], s[10:11]
.LBB19_762:
	v_lshrrev_b32_e32 v2, 24, v1
	s_movk_i32 s10, 0x80
	v_and_or_b32 v2, v2, s10, v0
.LBB19_763:
	s_or_b64 exec, exec, s[12:13]
.LBB19_764:
	s_or_b64 exec, exec, s[8:9]
	global_store_byte v[3:4], v2, off
.LBB19_765:
	s_mov_b64 s[8:9], -1
.LBB19_766:
	s_mov_b64 s[10:11], 0
.LBB19_767:
	s_and_b64 vcc, exec, s[10:11]
	s_cbranch_vccz .LBB19_808
; %bb.768:
	s_cmp_gt_i32 s15, 22
	s_mov_b64 s[10:11], -1
	s_cbranch_scc0 .LBB19_800
; %bb.769:
	s_cmp_lt_i32 s15, 24
	s_mov_b64 s[8:9], -1
	s_cbranch_scc1 .LBB19_789
; %bb.770:
	s_cmp_gt_i32 s15, 24
	s_cbranch_scc0 .LBB19_778
; %bb.771:
	v_and_b32_e32 v0, 0x7fffffff, v1
	s_mov_b32 s8, 0x47800000
	v_cmp_gt_u32_e32 vcc, s8, v0
	v_mov_b32_e32 v2, 0x80
	s_and_saveexec_b64 s[8:9], vcc
	s_cbranch_execz .LBB19_777
; %bb.772:
	s_mov_b32 s10, 0x37ffffff
	v_cmp_lt_u32_e32 vcc, s10, v0
	s_mov_b64 s[10:11], 0
                                        ; implicit-def: $vgpr0
	s_and_saveexec_b64 s[12:13], vcc
	s_xor_b64 s[12:13], exec, s[12:13]
	s_cbranch_execz .LBB19_884
; %bb.773:
	v_bfe_u32 v0, v1, 21, 1
	s_mov_b32 s16, 0x88fffff
	v_add3_u32 v0, v1, v0, s16
	s_mov_b64 s[10:11], exec
	v_lshrrev_b32_e32 v0, 21, v0
	s_andn2_saveexec_b64 s[12:13], s[12:13]
	s_cbranch_execnz .LBB19_885
.LBB19_774:
	s_or_b64 exec, exec, s[12:13]
	v_mov_b32_e32 v2, 0
	s_and_saveexec_b64 s[12:13], s[10:11]
.LBB19_775:
	v_lshrrev_b32_e32 v2, 24, v1
	s_movk_i32 s10, 0x80
	v_and_or_b32 v2, v2, s10, v0
.LBB19_776:
	s_or_b64 exec, exec, s[12:13]
.LBB19_777:
	s_or_b64 exec, exec, s[8:9]
	s_mov_b64 s[8:9], 0
	global_store_byte v[3:4], v2, off
.LBB19_778:
	s_and_b64 vcc, exec, s[8:9]
	s_cbranch_vccz .LBB19_788
; %bb.779:
	v_and_b32_e32 v2, 0x7fffffff, v1
	s_mov_b32 s8, 0x43f00000
	v_cmp_gt_u32_e32 vcc, s8, v2
                                        ; implicit-def: $vgpr0
	s_and_saveexec_b64 s[8:9], vcc
	s_xor_b64 s[8:9], exec, s[8:9]
	s_cbranch_execz .LBB19_785
; %bb.780:
	s_mov_b32 s10, 0x3c7fffff
	v_cmp_lt_u32_e32 vcc, s10, v2
                                        ; implicit-def: $vgpr0
	s_and_saveexec_b64 s[10:11], vcc
	s_xor_b64 s[10:11], exec, s[10:11]
; %bb.781:
	v_bfe_u32 v0, v1, 20, 1
	s_mov_b32 s12, 0x407ffff
	v_add3_u32 v0, v1, v0, s12
	v_lshrrev_b32_e32 v2, 20, v0
	v_and_b32_e32 v0, 0xff00000, v0
	s_mov_b32 s12, 0x7f00000
	v_mov_b32_e32 v5, 0x7e
	v_cmp_ne_u32_e32 vcc, s12, v0
	v_cndmask_b32_e32 v0, v5, v2, vcc
; %bb.782:
	s_andn2_saveexec_b64 s[10:11], s[10:11]
; %bb.783:
	s_mov_b32 s12, 0x46800000
	v_add_f32_e64 v0, |v1|, s12
; %bb.784:
	s_or_b64 exec, exec, s[10:11]
                                        ; implicit-def: $vgpr2
.LBB19_785:
	s_andn2_saveexec_b64 s[8:9], s[8:9]
; %bb.786:
	s_mov_b32 s10, 0x7f800000
	v_mov_b32_e32 v0, 0x7e
	v_mov_b32_e32 v5, 0x7f
	v_cmp_lt_u32_e32 vcc, s10, v2
	v_cndmask_b32_e32 v0, v0, v5, vcc
; %bb.787:
	s_or_b64 exec, exec, s[8:9]
	v_lshrrev_b32_e32 v2, 24, v1
	s_movk_i32 s8, 0x80
	v_and_or_b32 v0, v2, s8, v0
	global_store_byte v[3:4], v0, off
.LBB19_788:
	s_mov_b64 s[8:9], 0
.LBB19_789:
	s_andn2_b64 vcc, exec, s[8:9]
	s_cbranch_vccnz .LBB19_799
; %bb.790:
	v_and_b32_e32 v2, 0x7fffffff, v1
	s_mov_b32 s8, 0x47800000
	v_cmp_gt_u32_e32 vcc, s8, v2
                                        ; implicit-def: $vgpr0
	s_and_saveexec_b64 s[8:9], vcc
	s_xor_b64 s[8:9], exec, s[8:9]
	s_cbranch_execz .LBB19_796
; %bb.791:
	s_mov_b32 s10, 0x387fffff
	v_cmp_lt_u32_e32 vcc, s10, v2
                                        ; implicit-def: $vgpr0
	s_and_saveexec_b64 s[10:11], vcc
	s_xor_b64 s[10:11], exec, s[10:11]
; %bb.792:
	v_bfe_u32 v0, v1, 21, 1
	s_mov_b32 s12, 0x80fffff
	v_add3_u32 v0, v1, v0, s12
	v_lshrrev_b32_e32 v0, 21, v0
; %bb.793:
	s_andn2_saveexec_b64 s[10:11], s[10:11]
; %bb.794:
	s_mov_b32 s12, 0x43000000
	v_add_f32_e64 v0, |v1|, s12
; %bb.795:
	s_or_b64 exec, exec, s[10:11]
                                        ; implicit-def: $vgpr2
.LBB19_796:
	s_andn2_saveexec_b64 s[8:9], s[8:9]
; %bb.797:
	s_mov_b32 s10, 0x7f800000
	v_mov_b32_e32 v0, 0x7c
	v_mov_b32_e32 v5, 0x7f
	v_cmp_lt_u32_e32 vcc, s10, v2
	v_cndmask_b32_e32 v0, v0, v5, vcc
; %bb.798:
	s_or_b64 exec, exec, s[8:9]
	v_lshrrev_b32_e32 v2, 24, v1
	s_movk_i32 s8, 0x80
	v_and_or_b32 v0, v2, s8, v0
	global_store_byte v[3:4], v0, off
.LBB19_799:
	s_mov_b64 s[10:11], 0
	s_mov_b64 s[8:9], -1
.LBB19_800:
	s_andn2_b64 vcc, exec, s[10:11]
	s_cbranch_vccnz .LBB19_808
; %bb.801:
	s_cmp_gt_i32 s15, 14
	s_mov_b64 s[10:11], -1
	s_cbranch_scc0 .LBB19_805
; %bb.802:
	s_cmp_eq_u32 s15, 15
	s_mov_b64 s[0:1], -1
	s_cbranch_scc0 .LBB19_804
; %bb.803:
	v_bfe_u32 v0, v1, 16, 1
	s_movk_i32 s0, 0x7fff
	v_add3_u32 v0, v1, v0, s0
	v_cmp_o_f32_e32 vcc, v1, v1
	v_mov_b32_e32 v2, 0x7fc0
	v_cndmask_b32_sdwa v0, v2, v0, vcc dst_sel:DWORD dst_unused:UNUSED_PAD src0_sel:DWORD src1_sel:WORD_1
	global_store_short v[3:4], v0, off
	s_mov_b64 s[8:9], -1
	s_mov_b64 s[0:1], 0
.LBB19_804:
	s_mov_b64 s[10:11], 0
.LBB19_805:
	s_and_b64 vcc, exec, s[10:11]
	s_cbranch_vccz .LBB19_808
; %bb.806:
	s_cmp_eq_u32 s15, 11
	s_mov_b64 s[0:1], -1
	s_cbranch_scc0 .LBB19_808
; %bb.807:
	v_cmp_neq_f32_e32 vcc, 0, v1
	v_cndmask_b32_e64 v0, 0, 1, vcc
	s_mov_b64 s[8:9], -1
	s_mov_b64 s[0:1], 0
	global_store_byte v[3:4], v0, off
.LBB19_808:
	s_mov_b64 s[10:11], 0
.LBB19_809:
	s_and_b64 vcc, exec, s[10:11]
	s_cbranch_vccz .LBB19_848
; %bb.810:
	s_and_b32 s10, 0xffff, s14
	s_cmp_lt_i32 s10, 5
	s_mov_b64 s[8:9], -1
	s_cbranch_scc1 .LBB19_831
; %bb.811:
	s_cmp_lt_i32 s10, 8
	s_cbranch_scc1 .LBB19_821
; %bb.812:
	s_cmp_lt_i32 s10, 9
	s_cbranch_scc1 .LBB19_818
; %bb.813:
	s_cmp_gt_i32 s10, 9
	s_cbranch_scc0 .LBB19_815
; %bb.814:
	v_cvt_f64_f32_e32 v[9:10], v1
	v_mov_b32_e32 v11, 0
	v_mov_b32_e32 v12, v11
	s_mov_b64 s[8:9], 0
	global_store_dwordx4 v[3:4], v[9:12], off
.LBB19_815:
	s_andn2_b64 vcc, exec, s[8:9]
	s_cbranch_vccnz .LBB19_817
; %bb.816:
	v_mov_b32_e32 v2, 0
	global_store_dwordx2 v[3:4], v[1:2], off
.LBB19_817:
	s_mov_b64 s[8:9], 0
.LBB19_818:
	s_andn2_b64 vcc, exec, s[8:9]
	s_cbranch_vccnz .LBB19_820
; %bb.819:
	v_cvt_f16_f32_e32 v0, v1
	global_store_dword v[3:4], v0, off
.LBB19_820:
	s_mov_b64 s[8:9], 0
.LBB19_821:
	s_andn2_b64 vcc, exec, s[8:9]
	s_cbranch_vccnz .LBB19_830
; %bb.822:
	s_cmp_lt_i32 s10, 6
	s_mov_b64 s[8:9], -1
	s_cbranch_scc1 .LBB19_828
; %bb.823:
	s_cmp_gt_i32 s10, 6
	s_cbranch_scc0 .LBB19_825
; %bb.824:
	v_cvt_f64_f32_e32 v[5:6], v1
	s_mov_b64 s[8:9], 0
	global_store_dwordx2 v[3:4], v[5:6], off
.LBB19_825:
	s_andn2_b64 vcc, exec, s[8:9]
	s_cbranch_vccnz .LBB19_827
; %bb.826:
	global_store_dword v[3:4], v1, off
.LBB19_827:
	s_mov_b64 s[8:9], 0
.LBB19_828:
	s_andn2_b64 vcc, exec, s[8:9]
	s_cbranch_vccnz .LBB19_830
; %bb.829:
	v_cvt_f16_f32_e32 v0, v1
	global_store_short v[3:4], v0, off
.LBB19_830:
	s_mov_b64 s[8:9], 0
.LBB19_831:
	s_andn2_b64 vcc, exec, s[8:9]
	s_cbranch_vccnz .LBB19_847
; %bb.832:
	s_cmp_lt_i32 s10, 2
	s_mov_b64 s[8:9], -1
	s_cbranch_scc1 .LBB19_842
; %bb.833:
	s_cmp_lt_i32 s10, 3
	s_cbranch_scc1 .LBB19_839
; %bb.834:
	s_cmp_gt_i32 s10, 3
	s_cbranch_scc0 .LBB19_836
; %bb.835:
	v_trunc_f32_e32 v0, v1
	s_mov_b32 s8, 0x2f800000
	v_mul_f32_e64 v2, |v0|, s8
	v_floor_f32_e32 v2, v2
	s_mov_b32 s8, 0xcf800000
	v_cvt_u32_f32_e32 v5, v2
	v_fma_f32 v2, v2, s8, |v0|
	v_cvt_u32_f32_e32 v2, v2
	v_ashrrev_i32_e32 v0, 31, v0
	v_xor_b32_e32 v6, v5, v0
	s_mov_b64 s[8:9], 0
	v_xor_b32_e32 v2, v2, v0
	v_sub_co_u32_e32 v5, vcc, v2, v0
	v_subb_co_u32_e32 v6, vcc, v6, v0, vcc
	global_store_dwordx2 v[3:4], v[5:6], off
.LBB19_836:
	s_andn2_b64 vcc, exec, s[8:9]
	s_cbranch_vccnz .LBB19_838
; %bb.837:
	v_cvt_i32_f32_e32 v0, v1
	global_store_dword v[3:4], v0, off
.LBB19_838:
	s_mov_b64 s[8:9], 0
.LBB19_839:
	s_andn2_b64 vcc, exec, s[8:9]
	s_cbranch_vccnz .LBB19_841
; %bb.840:
	v_cvt_i32_f32_e32 v0, v1
	global_store_short v[3:4], v0, off
.LBB19_841:
	s_mov_b64 s[8:9], 0
.LBB19_842:
	s_andn2_b64 vcc, exec, s[8:9]
	s_cbranch_vccnz .LBB19_847
; %bb.843:
	s_cmp_gt_i32 s10, 0
	s_mov_b64 s[8:9], -1
	s_cbranch_scc0 .LBB19_845
; %bb.844:
	v_cvt_i32_f32_e32 v0, v1
	s_mov_b64 s[8:9], 0
	global_store_byte v[3:4], v0, off
.LBB19_845:
	s_andn2_b64 vcc, exec, s[8:9]
	s_cbranch_vccnz .LBB19_847
; %bb.846:
	v_trunc_f32_e32 v0, v1
	s_mov_b32 s8, 0x2f800000
	v_mul_f32_e64 v1, |v0|, s8
	v_floor_f32_e32 v1, v1
	s_mov_b32 s8, 0xcf800000
	v_fma_f32 v1, v1, s8, |v0|
	v_cvt_u32_f32_e32 v1, v1
	v_ashrrev_i32_e32 v0, 31, v0
	v_xor_b32_e32 v1, v1, v0
	v_sub_u32_e32 v0, v1, v0
	global_store_byte v[3:4], v0, off
.LBB19_847:
	s_mov_b64 s[8:9], -1
.LBB19_848:
	s_andn2_b64 vcc, exec, s[8:9]
	s_cbranch_vccnz .LBB19_850
; %bb.849:
	v_add_u32_e32 v8, 0x80, v8
	s_mov_b64 s[8:9], -1
	s_branch .LBB19_852
.LBB19_850:
	s_mov_b64 s[8:9], 0
.LBB19_851:
                                        ; implicit-def: $vgpr8
.LBB19_852:
	s_andn2_b64 s[10:11], s[60:61], exec
	s_and_b64 s[0:1], s[0:1], exec
	s_or_b64 s[68:69], s[10:11], s[0:1]
	s_andn2_b64 s[0:1], s[58:59], exec
	s_and_b64 s[2:3], s[2:3], exec
	s_or_b64 s[66:67], s[0:1], s[2:3]
	s_orn2_b64 s[2:3], s[8:9], exec
.LBB19_853:
	s_or_b64 exec, exec, s[64:65]
	s_mov_b64 s[0:1], 0
	s_mov_b64 s[8:9], 0
	;; [unrolled: 1-line block ×3, first 2 shown]
                                        ; implicit-def: $vgpr1_vgpr2
                                        ; implicit-def: $vgpr0
                                        ; implicit-def: $vgpr5
	s_and_saveexec_b64 s[64:65], s[2:3]
	s_cbranch_execz .LBB19_952
; %bb.854:
	v_cmp_gt_i32_e32 vcc, s70, v8
	s_mov_b64 s[2:3], 0
	s_mov_b64 s[12:13], s[66:67]
                                        ; implicit-def: $vgpr1_vgpr2
                                        ; implicit-def: $vgpr0
                                        ; implicit-def: $vgpr5
	s_and_saveexec_b64 s[70:71], vcc
	s_cbranch_execz .LBB19_951
; %bb.855:
	s_andn2_b64 vcc, exec, s[40:41]
	s_cbranch_vccnz .LBB19_860
; %bb.856:
	s_andn2_b64 vcc, exec, s[50:51]
	s_cbranch_vccnz .LBB19_861
; %bb.857:
	s_add_i32 s76, s75, 1
	s_cmp_eq_u32 s72, 2
	s_cbranch_scc1 .LBB19_862
; %bb.858:
	s_and_b32 s75, s76, 28
	v_mov_b32_e32 v2, 0
	s_mov_b32 s77, 0
	s_mov_b64 s[50:51], s[34:35]
	v_mov_b32_e32 v0, 0
	v_mov_b32_e32 v1, v8
.LBB19_859:                             ; =>This Inner Loop Header: Depth=1
	s_load_dwordx8 s[16:23], s[50:51], 0x4
	s_load_dwordx4 s[0:3], s[50:51], 0x24
	s_load_dwordx8 s[8:15], s[48:49], 0x0
	s_add_u32 s50, s50, 48
	s_addc_u32 s51, s51, 0
	s_waitcnt vmcnt(0) lgkmcnt(0)
	v_mul_hi_u32 v3, s17, v1
	s_add_i32 s77, s77, 4
	s_add_u32 s48, s48, 32
	s_addc_u32 s49, s49, 0
	v_add_u32_e32 v3, v1, v3
	v_lshrrev_b32_e32 v3, s18, v3
	v_mul_lo_u32 v4, v3, s16
	v_mul_hi_u32 v5, s20, v3
	s_cmp_eq_u32 s75, s77
	v_sub_u32_e32 v1, v1, v4
	v_add_u32_e32 v4, v3, v5
	v_mul_lo_u32 v5, v1, s8
	v_mul_lo_u32 v6, v1, s9
	v_lshrrev_b32_e32 v1, s21, v4
	v_mul_lo_u32 v4, v1, s19
	v_mul_hi_u32 v7, s23, v1
	v_sub_u32_e32 v3, v3, v4
	v_add_u32_e32 v4, v1, v7
	v_lshrrev_b32_e32 v4, s0, v4
	v_mul_hi_u32 v9, s2, v4
	v_mul_lo_u32 v10, v4, s22
	v_mul_lo_u32 v7, v3, s10
	;; [unrolled: 1-line block ×3, first 2 shown]
	v_sub_u32_e32 v10, v1, v10
	v_add_u32_e32 v1, v4, v9
	v_lshrrev_b32_e32 v1, s3, v1
	v_mul_lo_u32 v9, v1, s1
	v_mul_lo_u32 v11, v10, s12
	;; [unrolled: 1-line block ×3, first 2 shown]
	v_add3_u32 v0, v5, v0, v7
	v_sub_u32_e32 v4, v4, v9
	v_mul_lo_u32 v9, v4, s14
	v_mul_lo_u32 v4, v4, s15
	v_add3_u32 v2, v6, v2, v3
	v_add3_u32 v0, v11, v0, v9
	v_add3_u32 v2, v10, v2, v4
	s_cbranch_scc0 .LBB19_859
	s_branch .LBB19_863
.LBB19_860:
	s_mov_b64 s[0:1], -1
                                        ; implicit-def: $vgpr0
                                        ; implicit-def: $vgpr2
	s_branch .LBB19_867
.LBB19_861:
	v_mov_b32_e32 v0, 0
	v_mov_b32_e32 v2, 0
	s_branch .LBB19_866
.LBB19_862:
	s_mov_b32 s75, 0
	v_mov_b32_e32 v0, 0
	v_mov_b32_e32 v2, 0
	;; [unrolled: 1-line block ×3, first 2 shown]
.LBB19_863:
	s_and_b32 s8, s76, 3
	s_cmp_eq_u32 s8, 0
	s_cbranch_scc1 .LBB19_866
; %bb.864:
	s_lshl_b32 s0, s75, 3
	s_add_u32 s0, s34, s0
	s_addc_u32 s1, s35, 0
	s_add_u32 s0, s0, 0xc4
	s_addc_u32 s1, s1, 0
	s_mul_i32 s2, s75, 12
	s_add_u32 s2, s34, s2
	s_addc_u32 s3, s35, 0
.LBB19_865:                             ; =>This Inner Loop Header: Depth=1
	s_load_dwordx2 s[10:11], s[2:3], 0x4
	s_load_dword s9, s[2:3], 0xc
	s_load_dwordx2 s[12:13], s[0:1], 0x0
	s_add_u32 s2, s2, 12
	s_addc_u32 s3, s3, 0
	s_waitcnt vmcnt(0) lgkmcnt(0)
	v_mul_hi_u32 v3, s11, v1
	s_add_u32 s0, s0, 8
	s_addc_u32 s1, s1, 0
	s_add_i32 s8, s8, -1
	v_add_u32_e32 v3, v1, v3
	v_lshrrev_b32_e32 v4, s9, v3
	v_mul_lo_u32 v3, v4, s10
	s_cmp_lg_u32 s8, 0
	v_sub_u32_e32 v3, v1, v3
	v_mad_u64_u32 v[0:1], s[10:11], v3, s12, v[0:1]
	v_mad_u64_u32 v[2:3], s[10:11], v3, s13, v[2:3]
	v_mov_b32_e32 v1, v4
	s_cbranch_scc1 .LBB19_865
.LBB19_866:
	s_mov_b64 s[0:1], 0
.LBB19_867:
	s_andn2_b64 vcc, exec, s[0:1]
	s_cbranch_vccnz .LBB19_870
; %bb.868:
	s_waitcnt lgkmcnt(0)
	v_mul_hi_u32 v0, s37, v8
	s_andn2_b64 vcc, exec, s[46:47]
	v_add_u32_e32 v0, v8, v0
	v_lshrrev_b32_e32 v1, s38, v0
	v_mul_lo_u32 v0, v1, s36
	v_sub_u32_e32 v2, v8, v0
	v_mul_lo_u32 v0, v2, s28
	v_mul_lo_u32 v2, v2, s29
	s_cbranch_vccnz .LBB19_870
; %bb.869:
	s_waitcnt vmcnt(0)
	v_mul_hi_u32 v3, s44, v1
	v_add_u32_e32 v3, v1, v3
	v_lshrrev_b32_e32 v3, s45, v3
	v_mul_lo_u32 v3, v3, s39
	v_sub_u32_e32 v3, v1, v3
	v_mad_u64_u32 v[0:1], s[0:1], v3, s30, v[0:1]
	v_mad_u64_u32 v[2:3], s[0:1], v3, s31, v[2:3]
.LBB19_870:
	s_waitcnt vmcnt(0) lgkmcnt(0)
	v_mov_b32_e32 v3, s27
	s_and_b32 s14, 0xffff, s74
	v_add_co_u32_e32 v1, vcc, s26, v2
	s_cmp_lt_i32 s14, 11
	v_addc_co_u32_e32 v2, vcc, 0, v3, vcc
	s_cbranch_scc1 .LBB19_877
; %bb.871:
	s_cmp_gt_i32 s14, 25
	s_mov_b64 s[2:3], 0
	s_cbranch_scc0 .LBB19_878
; %bb.872:
	s_cmp_gt_i32 s14, 28
	s_cbranch_scc0 .LBB19_879
; %bb.873:
	s_cmp_gt_i32 s14, 43
	;; [unrolled: 3-line block ×3, first 2 shown]
	s_cbranch_scc0 .LBB19_883
; %bb.875:
	s_cmp_eq_u32 s14, 46
	s_mov_b64 s[10:11], 0
	s_cbranch_scc0 .LBB19_886
; %bb.876:
	global_load_dword v3, v[1:2], off
	s_mov_b64 s[0:1], 0
	s_mov_b64 s[8:9], -1
	s_waitcnt vmcnt(0)
	v_lshlrev_b32_e32 v5, 16, v3
	s_branch .LBB19_887
.LBB19_877:
	s_mov_b64 s[12:13], -1
	s_mov_b64 s[8:9], 0
	s_mov_b64 s[2:3], 0
	;; [unrolled: 1-line block ×3, first 2 shown]
                                        ; implicit-def: $vgpr5
	s_branch .LBB19_950
.LBB19_878:
	s_mov_b64 s[10:11], -1
	s_mov_b64 s[8:9], 0
	s_mov_b64 s[0:1], s[66:67]
                                        ; implicit-def: $vgpr5
	s_branch .LBB19_916
.LBB19_879:
	s_mov_b64 s[10:11], -1
	s_mov_b64 s[8:9], 0
	s_mov_b64 s[0:1], s[66:67]
                                        ; implicit-def: $vgpr5
	s_branch .LBB19_897
.LBB19_880:
	s_mov_b64 s[10:11], -1
	s_mov_b64 s[8:9], 0
	s_mov_b64 s[0:1], s[66:67]
                                        ; implicit-def: $vgpr5
	s_branch .LBB19_892
.LBB19_881:
	s_andn2_saveexec_b64 s[12:13], s[12:13]
	s_cbranch_execz .LBB19_761
.LBB19_882:
	s_mov_b32 s16, 0x46000000
	v_add_f32_e64 v0, |v1|, s16
	v_and_b32_e32 v0, 0xff, v0
	v_cmp_ne_u32_e32 vcc, 0, v0
	s_andn2_b64 s[10:11], s[10:11], exec
	s_and_b64 s[16:17], vcc, exec
	s_or_b64 s[10:11], s[10:11], s[16:17]
	s_or_b64 exec, exec, s[12:13]
	v_mov_b32_e32 v2, 0
	s_and_saveexec_b64 s[12:13], s[10:11]
	s_cbranch_execnz .LBB19_762
	s_branch .LBB19_763
.LBB19_883:
	s_mov_b64 s[10:11], -1
	s_mov_b64 s[8:9], 0
	s_mov_b64 s[0:1], s[66:67]
                                        ; implicit-def: $vgpr5
	s_branch .LBB19_887
.LBB19_884:
	s_andn2_saveexec_b64 s[12:13], s[12:13]
	s_cbranch_execz .LBB19_774
.LBB19_885:
	s_mov_b32 s16, 0x42800000
	v_add_f32_e64 v0, |v1|, s16
	v_and_b32_e32 v0, 0xff, v0
	v_cmp_ne_u32_e32 vcc, 0, v0
	s_andn2_b64 s[10:11], s[10:11], exec
	s_and_b64 s[16:17], vcc, exec
	s_or_b64 s[10:11], s[10:11], s[16:17]
	s_or_b64 exec, exec, s[12:13]
	v_mov_b32_e32 v2, 0
	s_and_saveexec_b64 s[12:13], s[10:11]
	s_cbranch_execnz .LBB19_775
	s_branch .LBB19_776
.LBB19_886:
	s_mov_b64 s[0:1], -1
                                        ; implicit-def: $vgpr5
	s_mov_b64 s[8:9], 0
.LBB19_887:
	s_and_b64 vcc, exec, s[10:11]
	s_cbranch_vccz .LBB19_891
; %bb.888:
	s_cmp_eq_u32 s14, 44
	s_cbranch_scc0 .LBB19_890
; %bb.889:
	global_load_ubyte v3, v[1:2], off
	s_movk_i32 s8, 0xff
	v_mov_b32_e32 v4, 0x7f800001
	v_mov_b32_e32 v5, 0x400000
	s_mov_b64 s[0:1], 0
	s_waitcnt vmcnt(0)
	v_lshlrev_b32_e32 v6, 23, v3
	v_cmp_ne_u32_e32 vcc, s8, v3
	v_cndmask_b32_e32 v4, v4, v6, vcc
	v_cmp_ne_u32_e32 vcc, 0, v3
	v_cndmask_b32_e32 v5, v5, v4, vcc
	s_mov_b64 s[8:9], -1
	s_branch .LBB19_891
.LBB19_890:
	s_mov_b64 s[0:1], -1
                                        ; implicit-def: $vgpr5
.LBB19_891:
	s_mov_b64 s[10:11], 0
.LBB19_892:
	s_and_b64 vcc, exec, s[10:11]
	s_cbranch_vccz .LBB19_896
; %bb.893:
	s_cmp_eq_u32 s14, 29
	s_cbranch_scc0 .LBB19_895
; %bb.894:
	global_load_dwordx2 v[3:4], v[1:2], off
	s_mov_b64 s[0:1], 0
	s_mov_b64 s[8:9], -1
	s_mov_b64 s[10:11], 0
	s_waitcnt vmcnt(0)
	v_ffbh_u32_e32 v5, v4
	v_min_u32_e32 v5, 32, v5
	v_lshlrev_b64 v[3:4], v5, v[3:4]
	v_min_u32_e32 v3, 1, v3
	v_or_b32_e32 v3, v4, v3
	v_cvt_f32_u32_e32 v3, v3
	v_sub_u32_e32 v4, 32, v5
	v_ldexp_f32 v5, v3, v4
	s_branch .LBB19_897
.LBB19_895:
	s_mov_b64 s[0:1], -1
                                        ; implicit-def: $vgpr5
.LBB19_896:
	s_mov_b64 s[10:11], 0
.LBB19_897:
	s_and_b64 vcc, exec, s[10:11]
	s_cbranch_vccz .LBB19_915
; %bb.898:
	s_cmp_lt_i32 s14, 27
	s_cbranch_scc1 .LBB19_901
; %bb.899:
	s_cmp_gt_i32 s14, 27
	s_cbranch_scc0 .LBB19_902
; %bb.900:
	global_load_dword v3, v[1:2], off
	s_mov_b64 s[8:9], 0
	s_waitcnt vmcnt(0)
	v_cvt_f32_u32_e32 v5, v3
	s_branch .LBB19_903
.LBB19_901:
	s_mov_b64 s[8:9], -1
                                        ; implicit-def: $vgpr5
	s_branch .LBB19_906
.LBB19_902:
	s_mov_b64 s[8:9], -1
                                        ; implicit-def: $vgpr5
.LBB19_903:
	s_andn2_b64 vcc, exec, s[8:9]
	s_cbranch_vccnz .LBB19_905
; %bb.904:
	global_load_ushort v3, v[1:2], off
	s_waitcnt vmcnt(0)
	v_cvt_f32_u32_e32 v5, v3
.LBB19_905:
	s_mov_b64 s[8:9], 0
.LBB19_906:
	s_andn2_b64 vcc, exec, s[8:9]
	s_cbranch_vccnz .LBB19_914
; %bb.907:
	global_load_ubyte v3, v[1:2], off
	s_movk_i32 s8, 0x7f
	s_waitcnt vmcnt(0)
	v_cmp_lt_i16_e32 vcc, s8, v3
	s_mov_b64 s[8:9], 0
	s_and_saveexec_b64 s[10:11], vcc
	s_xor_b64 s[10:11], exec, s[10:11]
	s_cbranch_execz .LBB19_928
; %bb.908:
	s_movk_i32 s8, 0x80
	v_cmp_eq_u16_e32 vcc, s8, v3
	s_mov_b64 s[8:9], -1
	s_and_saveexec_b64 s[12:13], vcc
; %bb.909:
	s_xor_b64 s[8:9], exec, -1
; %bb.910:
	s_or_b64 exec, exec, s[12:13]
	s_and_b64 s[8:9], s[8:9], exec
	s_or_saveexec_b64 s[10:11], s[10:11]
	v_mov_b32_e32 v5, 0x7f800001
	s_xor_b64 exec, exec, s[10:11]
	s_cbranch_execnz .LBB19_929
.LBB19_911:
	s_or_b64 exec, exec, s[10:11]
	s_and_saveexec_b64 s[10:11], s[8:9]
	s_cbranch_execz .LBB19_913
.LBB19_912:
	v_lshlrev_b32_e32 v4, 24, v3
	v_and_b32_e32 v3, 0xffff, v3
	v_and_b32_e32 v5, 7, v3
	v_ffbh_u32_e32 v7, v5
	v_min_u32_e32 v7, 32, v7
	v_subrev_u32_e32 v8, 28, v7
	v_bfe_u32 v6, v3, 3, 4
	v_lshlrev_b32_e32 v3, v8, v3
	v_sub_u32_e32 v7, 29, v7
	v_and_b32_e32 v3, 7, v3
	v_cmp_eq_u32_e32 vcc, 0, v6
	v_cndmask_b32_e32 v6, v6, v7, vcc
	v_cndmask_b32_e32 v3, v5, v3, vcc
	v_mov_b32_e32 v5, 0x3b800000
	v_lshlrev_b32_e32 v3, 20, v3
	v_and_b32_e32 v4, 0x80000000, v4
	v_lshl_add_u32 v5, v6, 23, v5
	v_or3_b32 v5, v4, v5, v3
.LBB19_913:
	s_or_b64 exec, exec, s[10:11]
.LBB19_914:
	s_mov_b64 s[8:9], -1
.LBB19_915:
	s_mov_b64 s[10:11], 0
.LBB19_916:
	s_and_b64 vcc, exec, s[10:11]
	s_cbranch_vccz .LBB19_949
; %bb.917:
	s_cmp_gt_i32 s14, 22
	s_cbranch_scc0 .LBB19_927
; %bb.918:
	s_cmp_lt_i32 s14, 24
	s_cbranch_scc1 .LBB19_930
; %bb.919:
	s_cmp_gt_i32 s14, 24
	s_cbranch_scc0 .LBB19_931
; %bb.920:
	global_load_ubyte v3, v[1:2], off
	s_movk_i32 s2, 0x7f
	s_waitcnt vmcnt(0)
	v_cmp_lt_i16_e32 vcc, s2, v3
	s_mov_b64 s[2:3], 0
	s_and_saveexec_b64 s[8:9], vcc
	s_xor_b64 s[8:9], exec, s[8:9]
	s_cbranch_execz .LBB19_943
; %bb.921:
	s_movk_i32 s2, 0x80
	v_cmp_eq_u16_e32 vcc, s2, v3
	s_mov_b64 s[2:3], -1
	s_and_saveexec_b64 s[10:11], vcc
; %bb.922:
	s_xor_b64 s[2:3], exec, -1
; %bb.923:
	s_or_b64 exec, exec, s[10:11]
	s_and_b64 s[2:3], s[2:3], exec
	s_or_saveexec_b64 s[8:9], s[8:9]
	v_mov_b32_e32 v5, 0x7f800001
	s_xor_b64 exec, exec, s[8:9]
	s_cbranch_execnz .LBB19_944
.LBB19_924:
	s_or_b64 exec, exec, s[8:9]
	s_and_saveexec_b64 s[8:9], s[2:3]
	s_cbranch_execz .LBB19_926
.LBB19_925:
	v_lshlrev_b32_e32 v4, 24, v3
	v_and_b32_e32 v3, 0xffff, v3
	v_and_b32_e32 v5, 3, v3
	v_ffbh_u32_e32 v7, v5
	v_min_u32_e32 v7, 32, v7
	v_subrev_u32_e32 v8, 29, v7
	v_bfe_u32 v6, v3, 2, 5
	v_lshlrev_b32_e32 v3, v8, v3
	v_sub_u32_e32 v7, 30, v7
	v_and_b32_e32 v3, 3, v3
	v_cmp_eq_u32_e32 vcc, 0, v6
	v_cndmask_b32_e32 v6, v6, v7, vcc
	v_cndmask_b32_e32 v3, v5, v3, vcc
	v_mov_b32_e32 v5, 0x37800000
	v_lshlrev_b32_e32 v3, 21, v3
	v_and_b32_e32 v4, 0x80000000, v4
	v_lshl_add_u32 v5, v6, 23, v5
	v_or3_b32 v5, v4, v5, v3
.LBB19_926:
	s_or_b64 exec, exec, s[8:9]
	s_mov_b64 s[2:3], 0
	s_branch .LBB19_932
.LBB19_927:
	s_mov_b64 s[2:3], -1
                                        ; implicit-def: $vgpr5
	s_branch .LBB19_938
.LBB19_928:
	s_or_saveexec_b64 s[10:11], s[10:11]
	v_mov_b32_e32 v5, 0x7f800001
	s_xor_b64 exec, exec, s[10:11]
	s_cbranch_execz .LBB19_911
.LBB19_929:
	v_cmp_ne_u16_e32 vcc, 0, v3
	s_andn2_b64 s[8:9], s[8:9], exec
	s_and_b64 s[12:13], vcc, exec
	v_mov_b32_e32 v5, 0
	s_or_b64 s[8:9], s[8:9], s[12:13]
	s_or_b64 exec, exec, s[10:11]
	s_and_saveexec_b64 s[10:11], s[8:9]
	s_cbranch_execnz .LBB19_912
	s_branch .LBB19_913
.LBB19_930:
	s_mov_b64 s[2:3], -1
                                        ; implicit-def: $vgpr5
	s_branch .LBB19_935
.LBB19_931:
	s_mov_b64 s[2:3], -1
                                        ; implicit-def: $vgpr5
.LBB19_932:
	s_and_b64 vcc, exec, s[2:3]
	s_cbranch_vccz .LBB19_934
; %bb.933:
	global_load_ubyte v3, v[1:2], off
	s_mov_b32 s2, 0x7f800000
	s_waitcnt vmcnt(0)
	v_lshlrev_b32_e32 v3, 24, v3
	v_and_b32_e32 v4, 0x7f000000, v3
	v_ffbh_u32_e32 v5, v4
	v_min_u32_e32 v5, 32, v5
	v_sub_u32_e64 v5, v5, 4 clamp
	v_lshlrev_b32_e32 v7, v5, v4
	v_lshlrev_b32_e32 v5, 23, v5
	v_lshrrev_b32_e32 v7, 4, v7
	v_add_u32_e32 v6, 0x1000000, v4
	v_sub_u32_e32 v5, v7, v5
	v_ashrrev_i32_e32 v6, 8, v6
	v_add_u32_e32 v5, 0x3c000000, v5
	v_and_or_b32 v5, v6, s2, v5
	v_cmp_ne_u32_e32 vcc, 0, v4
	v_cndmask_b32_e32 v4, 0, v5, vcc
	s_brev_b32 s2, 1
	v_and_or_b32 v5, v3, s2, v4
.LBB19_934:
	s_mov_b64 s[2:3], 0
.LBB19_935:
	s_andn2_b64 vcc, exec, s[2:3]
	s_cbranch_vccnz .LBB19_937
; %bb.936:
	global_load_ubyte v3, v[1:2], off
	s_movk_i32 s2, 0x7f00
	s_brev_b32 s3, 16
	s_waitcnt vmcnt(0)
	v_lshlrev_b16_e32 v4, 8, v3
	v_lshlrev_b32_e32 v3, 25, v3
	v_lshrrev_b32_e32 v5, 4, v3
	v_and_or_b32 v6, v4, s2, 0.5
	v_or_b32_e32 v5, 0x70000000, v5
	v_add_f32_e32 v6, -0.5, v6
	v_mul_f32_e32 v5, 0x7800000, v5
	v_cmp_gt_u32_e32 vcc, s3, v3
	v_bfe_i32 v4, v4, 0, 16
	v_cndmask_b32_e32 v3, v5, v6, vcc
	s_brev_b32 s2, 1
	v_and_or_b32 v5, v4, s2, v3
.LBB19_937:
	s_mov_b64 s[2:3], 0
	s_mov_b64 s[8:9], -1
.LBB19_938:
	s_andn2_b64 vcc, exec, s[2:3]
	s_mov_b64 s[2:3], 0
	s_cbranch_vccnz .LBB19_949
; %bb.939:
	s_cmp_gt_i32 s14, 14
	s_cbranch_scc0 .LBB19_942
; %bb.940:
	s_cmp_eq_u32 s14, 15
	s_cbranch_scc0 .LBB19_945
; %bb.941:
	global_load_ushort v3, v[1:2], off
	s_mov_b64 s[0:1], 0
	s_mov_b64 s[8:9], -1
	s_waitcnt vmcnt(0)
	v_lshlrev_b32_e32 v5, 16, v3
	s_branch .LBB19_946
.LBB19_942:
	s_mov_b64 s[10:11], -1
                                        ; implicit-def: $vgpr5
	s_branch .LBB19_947
.LBB19_943:
	s_or_saveexec_b64 s[8:9], s[8:9]
	v_mov_b32_e32 v5, 0x7f800001
	s_xor_b64 exec, exec, s[8:9]
	s_cbranch_execz .LBB19_924
.LBB19_944:
	v_cmp_ne_u16_e32 vcc, 0, v3
	s_andn2_b64 s[2:3], s[2:3], exec
	s_and_b64 s[10:11], vcc, exec
	v_mov_b32_e32 v5, 0
	s_or_b64 s[2:3], s[2:3], s[10:11]
	s_or_b64 exec, exec, s[8:9]
	s_and_saveexec_b64 s[8:9], s[2:3]
	s_cbranch_execnz .LBB19_925
	s_branch .LBB19_926
.LBB19_945:
	s_mov_b64 s[0:1], -1
                                        ; implicit-def: $vgpr5
.LBB19_946:
	s_mov_b64 s[10:11], 0
.LBB19_947:
	s_and_b64 vcc, exec, s[10:11]
	s_cbranch_vccz .LBB19_949
; %bb.948:
	s_cmp_lg_u32 s14, 11
	s_cselect_b64 s[10:11], -1, 0
	s_andn2_b64 s[0:1], s[0:1], exec
	s_and_b64 s[10:11], s[10:11], exec
	s_mov_b64 s[2:3], -1
	s_or_b64 s[0:1], s[0:1], s[10:11]
.LBB19_949:
	s_mov_b64 s[12:13], 0
.LBB19_950:
	s_and_b64 s[10:11], s[8:9], exec
	s_and_b64 s[8:9], s[12:13], exec
	s_andn2_b64 s[12:13], s[66:67], exec
	s_and_b64 s[0:1], s[0:1], exec
	s_and_b64 s[2:3], s[2:3], exec
	s_or_b64 s[12:13], s[12:13], s[0:1]
.LBB19_951:
	s_or_b64 exec, exec, s[70:71]
	s_and_b64 s[0:1], s[2:3], exec
	s_andn2_b64 s[2:3], s[66:67], exec
	s_and_b64 s[12:13], s[12:13], exec
	s_and_b64 s[10:11], s[10:11], exec
	;; [unrolled: 1-line block ×3, first 2 shown]
	s_or_b64 s[66:67], s[2:3], s[12:13]
.LBB19_952:
	s_or_b64 exec, exec, s[64:65]
	s_andn2_b64 s[2:3], s[60:61], exec
	s_and_b64 s[12:13], s[68:69], exec
	s_or_b64 s[60:61], s[2:3], s[12:13]
	s_and_b64 s[2:3], s[0:1], exec
	s_andn2_b64 s[0:1], s[58:59], exec
	s_and_b64 s[12:13], s[66:67], exec
	s_and_b64 s[10:11], s[10:11], exec
	;; [unrolled: 1-line block ×3, first 2 shown]
	s_or_b64 s[58:59], s[0:1], s[12:13]
.LBB19_953:
	s_or_b64 exec, exec, s[62:63]
	s_andn2_b64 s[0:1], s[52:53], exec
	s_and_b64 s[12:13], s[60:61], exec
	s_or_b64 s[52:53], s[0:1], s[12:13]
	s_and_b64 s[0:1], s[10:11], exec
	s_and_b64 s[10:11], s[8:9], exec
	;; [unrolled: 1-line block ×3, first 2 shown]
	s_andn2_b64 s[2:3], s[54:55], exec
	s_and_b64 s[8:9], s[58:59], exec
	s_or_b64 s[54:55], s[2:3], s[8:9]
	s_or_b64 exec, exec, s[56:57]
	s_mov_b64 s[2:3], 0
	s_and_saveexec_b64 s[8:9], s[54:55]
	s_cbranch_execz .LBB19_286
.LBB19_954:
	s_mov_b64 s[2:3], exec
	s_andn2_b64 s[60:61], s[60:61], exec
	s_trap 2
	s_or_b64 exec, exec, s[8:9]
	s_and_saveexec_b64 s[8:9], s[60:61]
	s_xor_b64 s[8:9], exec, s[8:9]
	s_cbranch_execnz .LBB19_287
.LBB19_955:
	s_or_b64 exec, exec, s[8:9]
	s_and_saveexec_b64 s[8:9], s[10:11]
	s_cbranch_execz .LBB19_1001
.LBB19_956:
	s_sext_i32_i16 s10, s74
	s_cmp_lt_i32 s10, 5
	s_cbranch_scc1 .LBB19_961
; %bb.957:
	s_cmp_lt_i32 s10, 8
	s_cbranch_scc1 .LBB19_962
; %bb.958:
	;; [unrolled: 3-line block ×3, first 2 shown]
	s_cmp_gt_i32 s10, 9
	s_cbranch_scc0 .LBB19_964
; %bb.960:
	global_load_dwordx2 v[3:4], v[1:2], off
	s_mov_b64 s[10:11], 0
	s_waitcnt vmcnt(0)
	v_cvt_f32_f64_e32 v5, v[3:4]
	s_branch .LBB19_965
.LBB19_961:
                                        ; implicit-def: $vgpr5
	s_branch .LBB19_982
.LBB19_962:
                                        ; implicit-def: $vgpr5
	s_branch .LBB19_971
.LBB19_963:
	s_mov_b64 s[10:11], -1
                                        ; implicit-def: $vgpr5
	s_branch .LBB19_968
.LBB19_964:
	s_mov_b64 s[10:11], -1
                                        ; implicit-def: $vgpr5
.LBB19_965:
	s_andn2_b64 vcc, exec, s[10:11]
	s_cbranch_vccnz .LBB19_967
; %bb.966:
	global_load_dword v5, v[1:2], off
.LBB19_967:
	s_mov_b64 s[10:11], 0
.LBB19_968:
	s_andn2_b64 vcc, exec, s[10:11]
	s_cbranch_vccnz .LBB19_970
; %bb.969:
	global_load_dword v3, v[1:2], off
	s_waitcnt vmcnt(0)
	v_cvt_f32_f16_e32 v5, v3
.LBB19_970:
	s_cbranch_execnz .LBB19_981
.LBB19_971:
	s_sext_i32_i16 s10, s74
	s_cmp_lt_i32 s10, 6
	s_cbranch_scc1 .LBB19_974
; %bb.972:
	s_cmp_gt_i32 s10, 6
	s_cbranch_scc0 .LBB19_975
; %bb.973:
	global_load_dwordx2 v[3:4], v[1:2], off
	s_mov_b64 s[10:11], 0
	s_waitcnt vmcnt(0)
	v_cvt_f32_f64_e32 v5, v[3:4]
	s_branch .LBB19_976
.LBB19_974:
	s_mov_b64 s[10:11], -1
                                        ; implicit-def: $vgpr5
	s_branch .LBB19_979
.LBB19_975:
	s_mov_b64 s[10:11], -1
                                        ; implicit-def: $vgpr5
.LBB19_976:
	s_andn2_b64 vcc, exec, s[10:11]
	s_cbranch_vccnz .LBB19_978
; %bb.977:
	global_load_dword v5, v[1:2], off
.LBB19_978:
	s_mov_b64 s[10:11], 0
.LBB19_979:
	s_andn2_b64 vcc, exec, s[10:11]
	s_cbranch_vccnz .LBB19_981
; %bb.980:
	global_load_ushort v3, v[1:2], off
	s_waitcnt vmcnt(0)
	v_cvt_f32_f16_e32 v5, v3
.LBB19_981:
	s_cbranch_execnz .LBB19_1000
.LBB19_982:
	s_sext_i32_i16 s10, s74
	s_cmp_lt_i32 s10, 2
	s_cbranch_scc1 .LBB19_986
; %bb.983:
	s_cmp_lt_i32 s10, 3
	s_cbranch_scc1 .LBB19_987
; %bb.984:
	s_cmp_gt_i32 s10, 3
	s_cbranch_scc0 .LBB19_988
; %bb.985:
	global_load_dwordx2 v[3:4], v[1:2], off
	s_mov_b64 s[10:11], 0
	s_waitcnt vmcnt(0)
	v_xor_b32_e32 v6, v3, v4
	v_ffbh_i32_e32 v5, v4
	v_ashrrev_i32_e32 v6, 31, v6
	v_add_u32_e32 v5, -1, v5
	v_add_u32_e32 v6, 32, v6
	v_min_u32_e32 v5, v5, v6
	v_lshlrev_b64 v[3:4], v5, v[3:4]
	v_min_u32_e32 v3, 1, v3
	v_or_b32_e32 v3, v4, v3
	v_cvt_f32_i32_e32 v3, v3
	v_sub_u32_e32 v4, 32, v5
	v_ldexp_f32 v5, v3, v4
	s_branch .LBB19_989
.LBB19_986:
                                        ; implicit-def: $vgpr5
	s_branch .LBB19_995
.LBB19_987:
	s_mov_b64 s[10:11], -1
                                        ; implicit-def: $vgpr5
	s_branch .LBB19_992
.LBB19_988:
	s_mov_b64 s[10:11], -1
                                        ; implicit-def: $vgpr5
.LBB19_989:
	s_andn2_b64 vcc, exec, s[10:11]
	s_cbranch_vccnz .LBB19_991
; %bb.990:
	global_load_dword v3, v[1:2], off
	s_waitcnt vmcnt(0)
	v_cvt_f32_i32_e32 v5, v3
.LBB19_991:
	s_mov_b64 s[10:11], 0
.LBB19_992:
	s_andn2_b64 vcc, exec, s[10:11]
	s_cbranch_vccnz .LBB19_994
; %bb.993:
	global_load_sshort v3, v[1:2], off
	s_waitcnt vmcnt(0)
	v_cvt_f32_i32_e32 v5, v3
.LBB19_994:
	s_cbranch_execnz .LBB19_1000
.LBB19_995:
	s_sext_i32_i16 s10, s74
	s_cmp_gt_i32 s10, 0
	s_cbranch_scc0 .LBB19_997
; %bb.996:
	global_load_sbyte v3, v[1:2], off
	s_mov_b64 s[10:11], 0
	s_waitcnt vmcnt(0)
	v_cvt_f32_i32_e32 v5, v3
	s_branch .LBB19_998
.LBB19_997:
	s_mov_b64 s[10:11], -1
                                        ; implicit-def: $vgpr5
.LBB19_998:
	s_andn2_b64 vcc, exec, s[10:11]
	s_cbranch_vccnz .LBB19_1000
; %bb.999:
	global_load_ubyte v1, v[1:2], off
	s_waitcnt vmcnt(0)
	v_cvt_f32_ubyte0_e32 v5, v1
.LBB19_1000:
	s_or_b64 s[0:1], s[0:1], exec
.LBB19_1001:
	s_or_b64 exec, exec, s[8:9]
	s_mov_b64 s[12:13], 0
	s_mov_b64 s[10:11], 0
                                        ; implicit-def: $sgpr18
                                        ; implicit-def: $vgpr3_vgpr4
                                        ; implicit-def: $vgpr1
	s_and_saveexec_b64 s[8:9], s[0:1]
	s_cbranch_execz .LBB19_1031
; %bb.1002:
	s_mov_b32 s0, 0x41000000
	s_waitcnt vmcnt(0)
	v_cmp_le_f32_e64 s[0:1], |v5|, s0
                                        ; implicit-def: $vgpr1
	s_and_saveexec_b64 s[10:11], s[0:1]
	s_xor_b64 s[10:11], exec, s[10:11]
	s_cbranch_execz .LBB19_1008
; %bb.1003:
	v_fma_f32 v1, |v5|, 0.5, -2.0
	v_mov_b32_e32 v2, 0xa3c2be86
	v_fmac_f32_e32 v2, 0x224cf950, v1
	v_mov_b32_e32 v3, 0xa24cf950
	v_fmac_f32_e32 v3, v1, v2
	v_add_f32_e32 v3, 0x25331f1f, v3
	v_fma_f32 v2, v1, v3, -v2
	v_add_f32_e32 v2, 0xa69f5554, v2
	v_fma_f32 v3, v1, v2, -v3
	;; [unrolled: 2-line block ×25, first 2 shown]
	v_add_f32_e32 v2, 0xbe34a688, v2
	s_mov_b32 s0, 0x3fb8aa3b
	v_fma_f32 v1, v1, v2, -v3
	v_mul_f32_e64 v2, |v5|, s0
	v_rndne_f32_e32 v4, v2
	v_sub_f32_e32 v6, v2, v4
	v_fma_f32 v2, |v5|, s0, -v2
	s_mov_b32 s0, 0x32a5705f
	v_fma_f32 v2, |v5|, s0, v2
	v_add_f32_e32 v2, v6, v2
	v_exp_f32_e32 v6, v2
	v_cvt_i32_f32_e32 v4, v4
	v_add_f32_e32 v1, 0x3e81531c, v1
	v_sub_f32_e32 v1, v1, v3
	v_mul_f32_e32 v1, 0.5, v1
	s_mov_b32 s0, 0xc2ce8ed0
	v_mul_f32_e64 v2, |v5|, v1
	v_ldexp_f32 v1, v6, v4
	v_cmp_nlt_f32_e64 s[0:1], |v5|, s0
	v_cndmask_b32_e64 v1, 0, v1, s[0:1]
	s_mov_b32 s0, 0x42b17218
	v_mov_b32_e32 v3, 0x7f800000
	v_cmp_ngt_f32_e64 s[0:1], |v5|, s0
	v_cmp_ngt_f32_e32 vcc, 0, v5
	v_cndmask_b32_e64 v3, v3, v1, s[0:1]
                                        ; implicit-def: $vgpr1
	s_and_saveexec_b64 s[0:1], vcc
	s_xor_b64 s[0:1], exec, s[0:1]
; %bb.1004:
	v_mul_f32_e32 v1, v3, v2
                                        ; implicit-def: $vgpr3
                                        ; implicit-def: $vgpr2
; %bb.1005:
	s_andn2_saveexec_b64 s[0:1], s[0:1]
; %bb.1006:
	v_mul_f32_e64 v1, v2, -v3
; %bb.1007:
	s_or_b64 exec, exec, s[0:1]
                                        ; implicit-def: $vgpr5
.LBB19_1008:
	s_andn2_saveexec_b64 s[10:11], s[10:11]
	s_cbranch_execz .LBB19_1014
; %bb.1009:
	v_and_b32_e32 v1, 0x7fffffff, v5
	s_mov_b32 s12, 0x42000000
	v_div_scale_f32 v2, s[0:1], v1, v1, s12
	v_div_scale_f32 v1, vcc, s12, v1, s12
	s_mov_b32 s13, 0x3fb8aa3b
	s_mov_b32 s14, 0x32a5705f
	v_mov_b32_e32 v3, 0x22a2dc57
	v_mov_b32_e32 v6, 0xa30aab6e
	v_cmp_ngt_f32_e64 s[0:1], 0, v5
	v_rcp_f32_e32 v4, v2
	v_fma_f32 v7, -v2, v4, 1.0
	v_fmac_f32_e32 v4, v7, v4
	v_mul_f32_e32 v7, v1, v4
	v_fma_f32 v8, -v2, v7, v1
	v_fmac_f32_e32 v7, v8, v4
	v_fma_f32 v1, -v2, v7, v1
	v_div_fmas_f32 v1, v1, v4, v7
	v_mul_f32_e64 v2, |v5|, s13
	v_rndne_f32_e32 v4, v2
	v_fma_f32 v7, |v5|, s13, -v2
	v_sub_f32_e32 v2, v2, v4
	v_fma_f32 v7, |v5|, s14, v7
	v_add_f32_e32 v2, v2, v7
	v_cvt_i32_f32_e32 v4, v4
	v_exp_f32_e32 v2, v2
	s_mov_b32 s13, 0xc2ce8ed0
	s_mov_b32 s14, 0x42b17218
	v_cmp_nlt_f32_e64 vcc, |v5|, s13
	v_ldexp_f32 v2, v2, v4
	v_mov_b32_e32 v7, 0x7f800000
	v_cndmask_b32_e32 v2, 0, v2, vcc
	v_cmp_ngt_f32_e64 vcc, |v5|, s14
	v_div_fixup_f32 v1, v1, |v5|, s12
	v_add_f32_e32 v1, -2.0, v1
	v_fmac_f32_e32 v3, 0x230aab6e, v1
	v_fmac_f32_e32 v6, v1, v3
	v_add_f32_e32 v4, 0xa456751e, v6
	v_fma_f32 v3, v1, v4, -v3
	v_add_f32_e32 v3, 0xa4140365, v3
	v_fma_f32 v4, v1, v3, -v4
	;; [unrolled: 2-line block ×22, first 2 shown]
	v_add_f32_e32 v1, 0x3f4750c6, v1
	v_cndmask_b32_e32 v2, v7, v2, vcc
	v_sub_f32_e32 v3, v1, v4
                                        ; implicit-def: $vgpr1
	s_and_saveexec_b64 s[12:13], s[0:1]
	s_xor_b64 s[12:13], exec, s[12:13]
	s_cbranch_execz .LBB19_1011
; %bb.1010:
	s_mov_b32 s0, 0xf800000
	s_mov_b32 s1, 0x4f800000
	v_mul_f32_e64 v1, |v5|, s1
	v_cmp_lt_f32_e64 vcc, |v5|, s0
	v_cndmask_b32_e64 v1, |v5|, v1, vcc
	v_sqrt_f32_e32 v4, v1
	v_mul_f32_e32 v3, 0.5, v3
	v_mul_f32_e32 v2, v2, v3
	v_add_u32_e32 v3, -1, v4
	v_fma_f32 v5, -v3, v4, v1
	v_cmp_ge_f32_e64 s[0:1], 0, v5
	v_add_u32_e32 v5, 1, v4
	v_cndmask_b32_e64 v3, v4, v3, s[0:1]
	v_fma_f32 v4, -v5, v4, v1
	v_cmp_lt_f32_e64 s[0:1], 0, v4
	v_cndmask_b32_e64 v3, v3, v5, s[0:1]
	v_mul_f32_e32 v4, 0x37800000, v3
	v_cndmask_b32_e32 v3, v3, v4, vcc
	v_mov_b32_e32 v4, 0x260
	v_cmp_class_f32_e32 vcc, v1, v4
	v_cndmask_b32_e32 v1, v3, v1, vcc
	v_div_scale_f32 v3, s[0:1], v1, v1, v2
	v_div_scale_f32 v4, vcc, v2, v1, v2
	v_rcp_f32_e32 v5, v3
	v_fma_f32 v6, -v3, v5, 1.0
	v_fmac_f32_e32 v5, v6, v5
	v_mul_f32_e32 v6, v4, v5
	v_fma_f32 v7, -v3, v6, v4
	v_fmac_f32_e32 v6, v7, v5
	v_fma_f32 v3, -v3, v6, v4
	v_div_fmas_f32 v3, v3, v5, v6
                                        ; implicit-def: $vgpr5
	v_div_fixup_f32 v1, v3, v1, v2
                                        ; implicit-def: $vgpr3
                                        ; implicit-def: $vgpr2
.LBB19_1011:
	s_andn2_saveexec_b64 s[12:13], s[12:13]
	s_cbranch_execz .LBB19_1013
; %bb.1012:
	s_mov_b32 s0, 0xf800000
	s_mov_b32 s1, 0x4f800000
	v_mul_f32_e64 v1, |v5|, s1
	v_cmp_lt_f32_e64 vcc, |v5|, s0
	v_cndmask_b32_e64 v1, |v5|, v1, vcc
	v_sqrt_f32_e32 v4, v1
	v_mul_f32_e32 v3, -0.5, v3
	v_mul_f32_e32 v2, v2, v3
	v_add_u32_e32 v5, -1, v4
	v_fma_f32 v6, -v5, v4, v1
	v_cmp_ge_f32_e64 s[0:1], 0, v6
	v_add_u32_e32 v6, 1, v4
	v_cndmask_b32_e64 v5, v4, v5, s[0:1]
	v_fma_f32 v4, -v6, v4, v1
	v_cmp_lt_f32_e64 s[0:1], 0, v4
	v_cndmask_b32_e64 v4, v5, v6, s[0:1]
	v_mul_f32_e32 v5, 0x37800000, v4
	v_cndmask_b32_e32 v4, v4, v5, vcc
	v_mov_b32_e32 v5, 0x260
	v_cmp_class_f32_e32 vcc, v1, v5
	v_cndmask_b32_e32 v1, v4, v1, vcc
	v_div_scale_f32 v3, s[0:1], v1, v1, v2
	v_div_scale_f32 v4, vcc, v2, v1, v2
	v_rcp_f32_e32 v5, v3
	v_fma_f32 v6, -v3, v5, 1.0
	v_fmac_f32_e32 v5, v6, v5
	v_mul_f32_e32 v6, v4, v5
	v_fma_f32 v7, -v3, v6, v4
	v_fmac_f32_e32 v6, v7, v5
	v_fma_f32 v3, -v3, v6, v4
	v_div_fmas_f32 v3, v3, v5, v6
	v_div_fixup_f32 v1, v3, v1, v2
.LBB19_1013:
	s_or_b64 exec, exec, s[12:13]
.LBB19_1014:
	s_or_b64 exec, exec, s[10:11]
	s_waitcnt lgkmcnt(0)
	v_mov_b32_e32 v2, s25
	s_and_b32 s18, s73, 0xff
	v_add_co_u32_e32 v3, vcc, s24, v0
	s_cmp_lt_i32 s18, 11
	v_addc_co_u32_e32 v4, vcc, 0, v2, vcc
	s_cbranch_scc1 .LBB19_1034
; %bb.1015:
	s_and_b32 s19, 0xffff, s18
	s_mov_b64 s[12:13], -1
	s_cmp_gt_i32 s19, 25
	s_mov_b64 s[0:1], s[52:53]
	s_cbranch_scc0 .LBB19_1052
; %bb.1016:
	s_mov_b64 s[10:11], -1
	s_cmp_gt_i32 s19, 28
	s_mov_b64 s[0:1], s[52:53]
	s_cbranch_scc0 .LBB19_1036
; %bb.1017:
	s_cmp_gt_i32 s19, 43
	s_mov_b64 s[0:1], s[52:53]
	s_cbranch_scc0 .LBB19_1028
; %bb.1018:
	;; [unrolled: 4-line block ×3, first 2 shown]
	s_cmp_eq_u32 s19, 46
	s_mov_b64 s[0:1], -1
	s_cbranch_scc0 .LBB19_1021
; %bb.1020:
	v_bfe_u32 v0, v1, 16, 1
	s_movk_i32 s0, 0x7fff
	v_add3_u32 v0, v1, v0, s0
	v_cmp_o_f32_e32 vcc, v1, v1
	v_mov_b32_e32 v2, 0x7fc0
	v_cndmask_b32_sdwa v0, v2, v0, vcc dst_sel:DWORD dst_unused:UNUSED_PAD src0_sel:DWORD src1_sel:WORD_1
	global_store_dword v[3:4], v0, off
	s_mov_b64 s[0:1], 0
.LBB19_1021:
	s_mov_b64 s[10:11], 0
.LBB19_1022:
	s_and_b64 vcc, exec, s[10:11]
	s_cbranch_vccz .LBB19_1027
; %bb.1023:
	s_cmp_eq_u32 s19, 44
	s_mov_b64 s[0:1], -1
	s_cbranch_scc0 .LBB19_1027
; %bb.1024:
	v_bfe_u32 v0, v1, 23, 8
	s_movk_i32 s0, 0xff
	v_cmp_ne_u32_e32 vcc, s0, v0
	v_mov_b32_e32 v2, 0xff
	s_and_saveexec_b64 s[10:11], vcc
; %bb.1025:
	s_mov_b32 s0, 0x3fffff
	v_and_b32_e32 v5, 0x400000, v1
	v_and_or_b32 v0, v1, s0, v0
	v_cmp_ne_u32_e32 vcc, 0, v5
	v_cmp_ne_u32_e64 s[0:1], 0, v0
	s_and_b64 s[0:1], vcc, s[0:1]
	v_lshrrev_b32_e32 v2, 23, v1
	v_cndmask_b32_e64 v0, 0, 1, s[0:1]
	v_add_u32_e32 v2, v2, v0
; %bb.1026:
	s_or_b64 exec, exec, s[10:11]
	s_mov_b64 s[0:1], 0
	global_store_byte v[3:4], v2, off
.LBB19_1027:
	s_mov_b64 s[10:11], 0
.LBB19_1028:
	s_and_b64 vcc, exec, s[10:11]
	s_cbranch_vccz .LBB19_1035
; %bb.1029:
	s_cmp_eq_u32 s19, 29
	s_mov_b64 s[0:1], -1
	s_cbranch_scc0 .LBB19_1035
; %bb.1030:
	v_trunc_f32_e32 v0, v1
	v_mul_f32_e32 v2, 0x2f800000, v0
	v_floor_f32_e32 v2, v2
	v_fmac_f32_e32 v0, 0xcf800000, v2
	v_cvt_u32_f32_e32 v6, v2
	v_cvt_u32_f32_e32 v5, v0
	s_mov_b64 s[0:1], 0
	s_mov_b64 s[10:11], 0
	global_store_dwordx2 v[3:4], v[5:6], off
	s_branch .LBB19_1036
.LBB19_1031:
	s_or_b64 exec, exec, s[8:9]
	s_and_saveexec_b64 s[0:1], s[52:53]
	s_cbranch_execnz .LBB19_1094
.LBB19_1032:
	s_or_b64 exec, exec, s[0:1]
	s_and_saveexec_b64 s[0:1], s[12:13]
	s_xor_b64 s[0:1], exec, s[0:1]
	s_cbranch_execz .LBB19_1095
.LBB19_1033:
	v_cmp_neq_f32_e32 vcc, 0, v1
	v_cndmask_b32_e64 v0, 0, 1, vcc
	s_waitcnt vmcnt(0)
	global_store_byte v[3:4], v0, off
	s_or_b64 exec, exec, s[0:1]
	s_and_saveexec_b64 s[0:1], s[10:11]
	s_xor_b64 s[0:1], exec, s[0:1]
	s_cbranch_execz .LBB19_1133
	s_branch .LBB19_1096
.LBB19_1034:
	s_mov_b64 s[12:13], 0
	s_mov_b64 s[10:11], -1
	s_mov_b64 s[0:1], s[52:53]
	s_branch .LBB19_1093
.LBB19_1035:
	s_mov_b64 s[10:11], 0
.LBB19_1036:
	s_and_b64 vcc, exec, s[10:11]
	s_cbranch_vccz .LBB19_1051
; %bb.1037:
	s_cmp_lt_i32 s19, 27
	s_mov_b64 s[10:11], -1
	s_cbranch_scc1 .LBB19_1043
; %bb.1038:
	s_cmp_gt_i32 s19, 27
	s_cbranch_scc0 .LBB19_1040
; %bb.1039:
	v_cvt_u32_f32_e32 v0, v1
	s_mov_b64 s[10:11], 0
	global_store_dword v[3:4], v0, off
.LBB19_1040:
	s_andn2_b64 vcc, exec, s[10:11]
	s_cbranch_vccnz .LBB19_1042
; %bb.1041:
	v_cvt_u32_f32_e32 v0, v1
	global_store_short v[3:4], v0, off
.LBB19_1042:
	s_mov_b64 s[10:11], 0
.LBB19_1043:
	s_andn2_b64 vcc, exec, s[10:11]
	s_cbranch_vccnz .LBB19_1051
; %bb.1044:
	v_and_b32_e32 v0, 0x7fffffff, v1
	s_mov_b32 s10, 0x43800000
	v_cmp_gt_u32_e32 vcc, s10, v0
	v_mov_b32_e32 v2, 0x80
	s_and_saveexec_b64 s[10:11], vcc
	s_cbranch_execz .LBB19_1050
; %bb.1045:
	s_mov_b32 s12, 0x3bffffff
	v_cmp_lt_u32_e32 vcc, s12, v0
	s_mov_b64 s[12:13], 0
                                        ; implicit-def: $vgpr0
	s_and_saveexec_b64 s[14:15], vcc
	s_xor_b64 s[14:15], exec, s[14:15]
	s_cbranch_execz .LBB19_1204
; %bb.1046:
	v_bfe_u32 v0, v1, 20, 1
	s_mov_b32 s16, 0x487ffff
	v_add3_u32 v0, v1, v0, s16
	s_mov_b64 s[12:13], exec
	v_lshrrev_b32_e32 v0, 20, v0
	s_andn2_saveexec_b64 s[14:15], s[14:15]
	s_cbranch_execnz .LBB19_1205
.LBB19_1047:
	s_or_b64 exec, exec, s[14:15]
	v_mov_b32_e32 v2, 0
	s_and_saveexec_b64 s[14:15], s[12:13]
.LBB19_1048:
	v_lshrrev_b32_e32 v2, 24, v1
	s_movk_i32 s12, 0x80
	v_and_or_b32 v2, v2, s12, v0
.LBB19_1049:
	s_or_b64 exec, exec, s[14:15]
.LBB19_1050:
	s_or_b64 exec, exec, s[10:11]
	global_store_byte v[3:4], v2, off
.LBB19_1051:
	s_mov_b64 s[12:13], 0
.LBB19_1052:
	s_mov_b64 s[10:11], 0
	s_and_b64 vcc, exec, s[12:13]
	s_cbranch_vccz .LBB19_1092
; %bb.1053:
	s_cmp_gt_i32 s19, 22
	s_mov_b64 s[12:13], -1
	s_cbranch_scc0 .LBB19_1085
; %bb.1054:
	s_cmp_lt_i32 s19, 24
	s_cbranch_scc1 .LBB19_1074
; %bb.1055:
	s_cmp_gt_i32 s19, 24
	s_cbranch_scc0 .LBB19_1063
; %bb.1056:
	v_and_b32_e32 v0, 0x7fffffff, v1
	s_mov_b32 s12, 0x47800000
	v_cmp_gt_u32_e32 vcc, s12, v0
	v_mov_b32_e32 v2, 0x80
	s_and_saveexec_b64 s[12:13], vcc
	s_cbranch_execz .LBB19_1062
; %bb.1057:
	s_mov_b32 s14, 0x37ffffff
	v_cmp_lt_u32_e32 vcc, s14, v0
	s_mov_b64 s[14:15], 0
                                        ; implicit-def: $vgpr0
	s_and_saveexec_b64 s[16:17], vcc
	s_xor_b64 s[16:17], exec, s[16:17]
	s_cbranch_execz .LBB19_1341
; %bb.1058:
	v_bfe_u32 v0, v1, 21, 1
	s_mov_b32 s20, 0x88fffff
	v_add3_u32 v0, v1, v0, s20
	s_mov_b64 s[14:15], exec
	v_lshrrev_b32_e32 v0, 21, v0
	s_andn2_saveexec_b64 s[16:17], s[16:17]
	s_cbranch_execnz .LBB19_1342
.LBB19_1059:
	s_or_b64 exec, exec, s[16:17]
	v_mov_b32_e32 v2, 0
	s_and_saveexec_b64 s[16:17], s[14:15]
.LBB19_1060:
	v_lshrrev_b32_e32 v2, 24, v1
	s_movk_i32 s14, 0x80
	v_and_or_b32 v2, v2, s14, v0
.LBB19_1061:
	s_or_b64 exec, exec, s[16:17]
.LBB19_1062:
	s_or_b64 exec, exec, s[12:13]
	s_mov_b64 s[12:13], 0
	global_store_byte v[3:4], v2, off
.LBB19_1063:
	s_and_b64 vcc, exec, s[12:13]
	s_cbranch_vccz .LBB19_1073
; %bb.1064:
	v_and_b32_e32 v2, 0x7fffffff, v1
	s_mov_b32 s12, 0x43f00000
	v_cmp_gt_u32_e32 vcc, s12, v2
                                        ; implicit-def: $vgpr0
	s_and_saveexec_b64 s[12:13], vcc
	s_xor_b64 s[12:13], exec, s[12:13]
	s_cbranch_execz .LBB19_1070
; %bb.1065:
	s_mov_b32 s14, 0x3c7fffff
	v_cmp_lt_u32_e32 vcc, s14, v2
                                        ; implicit-def: $vgpr0
	s_and_saveexec_b64 s[14:15], vcc
	s_xor_b64 s[14:15], exec, s[14:15]
; %bb.1066:
	v_bfe_u32 v0, v1, 20, 1
	s_mov_b32 s16, 0x407ffff
	v_add3_u32 v0, v1, v0, s16
	v_lshrrev_b32_e32 v2, 20, v0
	v_and_b32_e32 v0, 0xff00000, v0
	s_mov_b32 s16, 0x7f00000
	v_mov_b32_e32 v5, 0x7e
	v_cmp_ne_u32_e32 vcc, s16, v0
	v_cndmask_b32_e32 v0, v5, v2, vcc
; %bb.1067:
	s_andn2_saveexec_b64 s[14:15], s[14:15]
; %bb.1068:
	s_mov_b32 s16, 0x46800000
	v_add_f32_e64 v0, |v1|, s16
; %bb.1069:
	s_or_b64 exec, exec, s[14:15]
                                        ; implicit-def: $vgpr2
.LBB19_1070:
	s_andn2_saveexec_b64 s[12:13], s[12:13]
; %bb.1071:
	s_mov_b32 s14, 0x7f800000
	v_mov_b32_e32 v0, 0x7e
	v_mov_b32_e32 v5, 0x7f
	v_cmp_lt_u32_e32 vcc, s14, v2
	v_cndmask_b32_e32 v0, v0, v5, vcc
; %bb.1072:
	s_or_b64 exec, exec, s[12:13]
	v_lshrrev_b32_e32 v2, 24, v1
	s_movk_i32 s12, 0x80
	v_and_or_b32 v0, v2, s12, v0
	global_store_byte v[3:4], v0, off
.LBB19_1073:
	s_mov_b64 s[12:13], 0
.LBB19_1074:
	s_andn2_b64 vcc, exec, s[12:13]
	s_cbranch_vccnz .LBB19_1084
; %bb.1075:
	v_and_b32_e32 v2, 0x7fffffff, v1
	s_mov_b32 s12, 0x47800000
	v_cmp_gt_u32_e32 vcc, s12, v2
                                        ; implicit-def: $vgpr0
	s_and_saveexec_b64 s[12:13], vcc
	s_xor_b64 s[12:13], exec, s[12:13]
	s_cbranch_execz .LBB19_1081
; %bb.1076:
	s_mov_b32 s14, 0x387fffff
	v_cmp_lt_u32_e32 vcc, s14, v2
                                        ; implicit-def: $vgpr0
	s_and_saveexec_b64 s[14:15], vcc
	s_xor_b64 s[14:15], exec, s[14:15]
; %bb.1077:
	v_bfe_u32 v0, v1, 21, 1
	s_mov_b32 s16, 0x80fffff
	v_add3_u32 v0, v1, v0, s16
	v_lshrrev_b32_e32 v0, 21, v0
; %bb.1078:
	s_andn2_saveexec_b64 s[14:15], s[14:15]
; %bb.1079:
	s_mov_b32 s16, 0x43000000
	v_add_f32_e64 v0, |v1|, s16
; %bb.1080:
	s_or_b64 exec, exec, s[14:15]
                                        ; implicit-def: $vgpr2
.LBB19_1081:
	s_andn2_saveexec_b64 s[12:13], s[12:13]
; %bb.1082:
	s_mov_b32 s14, 0x7f800000
	v_mov_b32_e32 v0, 0x7c
	v_mov_b32_e32 v5, 0x7f
	v_cmp_lt_u32_e32 vcc, s14, v2
	v_cndmask_b32_e32 v0, v0, v5, vcc
; %bb.1083:
	s_or_b64 exec, exec, s[12:13]
	v_lshrrev_b32_e32 v2, 24, v1
	s_movk_i32 s12, 0x80
	v_and_or_b32 v0, v2, s12, v0
	global_store_byte v[3:4], v0, off
.LBB19_1084:
	s_mov_b64 s[12:13], 0
.LBB19_1085:
	s_andn2_b64 vcc, exec, s[12:13]
	s_mov_b64 s[12:13], 0
	s_cbranch_vccnz .LBB19_1093
; %bb.1086:
	s_cmp_gt_i32 s19, 14
	s_mov_b64 s[14:15], -1
	s_cbranch_scc0 .LBB19_1090
; %bb.1087:
	s_cmp_eq_u32 s19, 15
	s_mov_b64 s[0:1], -1
	s_cbranch_scc0 .LBB19_1089
; %bb.1088:
	v_bfe_u32 v0, v1, 16, 1
	s_movk_i32 s0, 0x7fff
	v_add3_u32 v0, v1, v0, s0
	v_cmp_o_f32_e32 vcc, v1, v1
	v_mov_b32_e32 v2, 0x7fc0
	v_cndmask_b32_sdwa v0, v2, v0, vcc dst_sel:DWORD dst_unused:UNUSED_PAD src0_sel:DWORD src1_sel:WORD_1
	global_store_short v[3:4], v0, off
	s_mov_b64 s[0:1], 0
.LBB19_1089:
	s_mov_b64 s[14:15], 0
.LBB19_1090:
	s_and_b64 vcc, exec, s[14:15]
	s_cbranch_vccz .LBB19_1093
; %bb.1091:
	s_cmp_lg_u32 s19, 11
	s_cselect_b64 s[14:15], -1, 0
	s_andn2_b64 s[0:1], s[0:1], exec
	s_and_b64 s[14:15], s[14:15], exec
	s_mov_b64 s[12:13], -1
	s_or_b64 s[0:1], s[0:1], s[14:15]
	s_branch .LBB19_1093
.LBB19_1092:
	s_mov_b64 s[12:13], 0
.LBB19_1093:
	s_andn2_b64 s[14:15], s[52:53], exec
	s_and_b64 s[0:1], s[0:1], exec
	s_and_b64 s[10:11], s[10:11], exec
	;; [unrolled: 1-line block ×3, first 2 shown]
	s_or_b64 s[52:53], s[14:15], s[0:1]
	s_or_b64 exec, exec, s[8:9]
	s_and_saveexec_b64 s[0:1], s[52:53]
	s_cbranch_execz .LBB19_1032
.LBB19_1094:
	s_or_b64 s[2:3], s[2:3], exec
	s_andn2_b64 s[12:13], s[12:13], exec
	s_trap 2
	s_or_b64 exec, exec, s[0:1]
	s_and_saveexec_b64 s[0:1], s[12:13]
	s_xor_b64 s[0:1], exec, s[0:1]
	s_cbranch_execnz .LBB19_1033
.LBB19_1095:
	s_or_b64 exec, exec, s[0:1]
	s_and_saveexec_b64 s[0:1], s[10:11]
	s_xor_b64 s[0:1], exec, s[0:1]
	s_cbranch_execz .LBB19_1133
.LBB19_1096:
	s_sext_i32_i16 s10, s18
	s_cmp_lt_i32 s10, 5
	s_mov_b64 s[8:9], -1
	s_cbranch_scc1 .LBB19_1117
; %bb.1097:
	s_cmp_lt_i32 s10, 8
	s_cbranch_scc1 .LBB19_1107
; %bb.1098:
	s_cmp_lt_i32 s10, 9
	s_cbranch_scc1 .LBB19_1104
; %bb.1099:
	s_cmp_gt_i32 s10, 9
	s_cbranch_scc0 .LBB19_1101
; %bb.1100:
	s_waitcnt vmcnt(0)
	v_cvt_f64_f32_e32 v[5:6], v1
	v_mov_b32_e32 v7, 0
	v_mov_b32_e32 v8, v7
	s_mov_b64 s[8:9], 0
	global_store_dwordx4 v[3:4], v[5:8], off
.LBB19_1101:
	s_andn2_b64 vcc, exec, s[8:9]
	s_cbranch_vccnz .LBB19_1103
; %bb.1102:
	v_mov_b32_e32 v2, 0
	s_waitcnt vmcnt(0)
	global_store_dwordx2 v[3:4], v[1:2], off
.LBB19_1103:
	s_mov_b64 s[8:9], 0
.LBB19_1104:
	s_andn2_b64 vcc, exec, s[8:9]
	s_cbranch_vccnz .LBB19_1106
; %bb.1105:
	v_cvt_f16_f32_e32 v0, v1
	s_waitcnt vmcnt(0)
	global_store_dword v[3:4], v0, off
.LBB19_1106:
	s_mov_b64 s[8:9], 0
.LBB19_1107:
	s_andn2_b64 vcc, exec, s[8:9]
	s_cbranch_vccnz .LBB19_1116
; %bb.1108:
	s_sext_i32_i16 s10, s18
	s_cmp_lt_i32 s10, 6
	s_mov_b64 s[8:9], -1
	s_cbranch_scc1 .LBB19_1114
; %bb.1109:
	s_cmp_gt_i32 s10, 6
	s_cbranch_scc0 .LBB19_1111
; %bb.1110:
	s_waitcnt vmcnt(0)
	v_cvt_f64_f32_e32 v[5:6], v1
	s_mov_b64 s[8:9], 0
	global_store_dwordx2 v[3:4], v[5:6], off
.LBB19_1111:
	s_andn2_b64 vcc, exec, s[8:9]
	s_cbranch_vccnz .LBB19_1113
; %bb.1112:
	s_waitcnt vmcnt(0)
	global_store_dword v[3:4], v1, off
.LBB19_1113:
	s_mov_b64 s[8:9], 0
.LBB19_1114:
	s_andn2_b64 vcc, exec, s[8:9]
	s_cbranch_vccnz .LBB19_1116
; %bb.1115:
	v_cvt_f16_f32_e32 v0, v1
	s_waitcnt vmcnt(0)
	global_store_short v[3:4], v0, off
.LBB19_1116:
	s_mov_b64 s[8:9], 0
.LBB19_1117:
	s_andn2_b64 vcc, exec, s[8:9]
	s_cbranch_vccnz .LBB19_1133
; %bb.1118:
	s_sext_i32_i16 s10, s18
	s_cmp_lt_i32 s10, 2
	s_mov_b64 s[8:9], -1
	s_cbranch_scc1 .LBB19_1128
; %bb.1119:
	s_cmp_lt_i32 s10, 3
	s_cbranch_scc1 .LBB19_1125
; %bb.1120:
	s_cmp_gt_i32 s10, 3
	s_cbranch_scc0 .LBB19_1122
; %bb.1121:
	v_trunc_f32_e32 v0, v1
	s_mov_b32 s8, 0x2f800000
	v_mul_f32_e64 v2, |v0|, s8
	v_floor_f32_e32 v2, v2
	s_mov_b32 s8, 0xcf800000
	s_waitcnt vmcnt(0)
	v_cvt_u32_f32_e32 v5, v2
	v_fma_f32 v2, v2, s8, |v0|
	v_cvt_u32_f32_e32 v2, v2
	v_ashrrev_i32_e32 v0, 31, v0
	v_xor_b32_e32 v6, v5, v0
	s_mov_b64 s[8:9], 0
	v_xor_b32_e32 v2, v2, v0
	v_sub_co_u32_e32 v5, vcc, v2, v0
	v_subb_co_u32_e32 v6, vcc, v6, v0, vcc
	global_store_dwordx2 v[3:4], v[5:6], off
.LBB19_1122:
	s_andn2_b64 vcc, exec, s[8:9]
	s_cbranch_vccnz .LBB19_1124
; %bb.1123:
	v_cvt_i32_f32_e32 v0, v1
	s_waitcnt vmcnt(0)
	global_store_dword v[3:4], v0, off
.LBB19_1124:
	s_mov_b64 s[8:9], 0
.LBB19_1125:
	s_andn2_b64 vcc, exec, s[8:9]
	s_cbranch_vccnz .LBB19_1127
; %bb.1126:
	v_cvt_i32_f32_e32 v0, v1
	s_waitcnt vmcnt(0)
	global_store_short v[3:4], v0, off
.LBB19_1127:
	s_mov_b64 s[8:9], 0
.LBB19_1128:
	s_andn2_b64 vcc, exec, s[8:9]
	s_cbranch_vccnz .LBB19_1133
; %bb.1129:
	s_sext_i32_i16 s8, s18
	s_cmp_gt_i32 s8, 0
	s_mov_b64 s[8:9], -1
	s_cbranch_scc0 .LBB19_1131
; %bb.1130:
	v_cvt_i32_f32_e32 v0, v1
	s_mov_b64 s[8:9], 0
	s_waitcnt vmcnt(0)
	global_store_byte v[3:4], v0, off
.LBB19_1131:
	s_andn2_b64 vcc, exec, s[8:9]
	s_cbranch_vccnz .LBB19_1133
; %bb.1132:
	v_trunc_f32_e32 v0, v1
	s_mov_b32 s8, 0x2f800000
	v_mul_f32_e64 v1, |v0|, s8
	v_floor_f32_e32 v1, v1
	s_mov_b32 s8, 0xcf800000
	v_fma_f32 v1, v1, s8, |v0|
	v_cvt_u32_f32_e32 v1, v1
	v_ashrrev_i32_e32 v0, 31, v0
	v_xor_b32_e32 v1, v1, v0
	v_sub_u32_e32 v0, v1, v0
	s_waitcnt vmcnt(0)
	global_store_byte v[3:4], v0, off
.LBB19_1133:
	s_or_b64 exec, exec, s[0:1]
	s_waitcnt lgkmcnt(0)
	s_and_b64 s[28:29], s[2:3], exec
                                        ; implicit-def: $vgpr15
                                        ; implicit-def: $vgpr8
.LBB19_1134:
	s_or_saveexec_b64 s[30:31], s[42:43]
	s_mov_b64 s[0:1], 0
                                        ; implicit-def: $vgpr0_vgpr1
                                        ; implicit-def: $sgpr14
                                        ; implicit-def: $vgpr7
	s_xor_b64 exec, exec, s[30:31]
	s_cbranch_execz .LBB19_1832
; %bb.1135:
	v_cndmask_b32_e64 v0, 0, 1, s[40:41]
	v_cmp_ne_u32_e64 s[0:1], 1, v0
	s_andn2_b64 vcc, exec, s[40:41]
	s_cbranch_vccnz .LBB19_1141
; %bb.1136:
	s_cmp_lg_u32 s33, 0
	s_mov_b32 s36, 0
	s_cbranch_scc0 .LBB19_1142
; %bb.1137:
	s_min_u32 s37, s72, 15
	s_add_i32 s37, s37, 1
	s_cmp_eq_u32 s72, 2
	s_cbranch_scc1 .LBB19_1143
; %bb.1138:
	s_and_b32 s36, s37, 28
	s_add_u32 s2, s34, 0xc4
	s_addc_u32 s3, s35, 0
	v_mov_b32_e32 v13, 0
	s_mov_b32 s38, 0
	s_mov_b64 s[6:7], s[34:35]
	v_mov_b32_e32 v6, 0
	v_mov_b32_e32 v0, v8
.LBB19_1139:                            ; =>This Inner Loop Header: Depth=1
	s_load_dwordx8 s[16:23], s[6:7], 0x4
	s_load_dwordx4 s[24:27], s[6:7], 0x24
	s_load_dwordx8 s[8:15], s[2:3], 0x0
	s_add_u32 s6, s6, 48
	s_addc_u32 s7, s7, 0
	s_waitcnt lgkmcnt(0)
	v_mul_hi_u32 v1, s17, v0
	s_add_i32 s38, s38, 4
	s_add_u32 s2, s2, 32
	s_addc_u32 s3, s3, 0
	v_add_u32_e32 v1, v0, v1
	v_lshrrev_b32_e32 v1, s18, v1
	v_mul_lo_u32 v2, v1, s16
	s_waitcnt vmcnt(0)
	v_mul_hi_u32 v3, s20, v1
	s_cmp_lg_u32 s36, s38
	v_sub_u32_e32 v0, v0, v2
	v_add_u32_e32 v2, v1, v3
	v_mul_lo_u32 v3, v0, s8
	v_mul_lo_u32 v4, v0, s9
	v_lshrrev_b32_e32 v0, s21, v2
	v_mul_lo_u32 v2, v0, s19
	v_mul_hi_u32 v5, s23, v0
	v_sub_u32_e32 v1, v1, v2
	v_add_u32_e32 v2, v0, v5
	v_lshrrev_b32_e32 v2, s24, v2
	v_mul_hi_u32 v7, s26, v2
	v_mul_lo_u32 v9, v2, s22
	v_mul_lo_u32 v5, v1, s10
	;; [unrolled: 1-line block ×3, first 2 shown]
	v_sub_u32_e32 v9, v0, v9
	v_add_u32_e32 v0, v2, v7
	v_lshrrev_b32_e32 v0, s27, v0
	v_mul_lo_u32 v7, v0, s25
	v_mul_lo_u32 v10, v9, s12
	;; [unrolled: 1-line block ×3, first 2 shown]
	v_add3_u32 v3, v3, v6, v5
	v_sub_u32_e32 v2, v2, v7
	v_mul_lo_u32 v7, v2, s14
	v_mul_lo_u32 v2, v2, s15
	v_add3_u32 v1, v4, v13, v1
	v_add3_u32 v6, v10, v3, v7
	;; [unrolled: 1-line block ×3, first 2 shown]
	s_cbranch_scc1 .LBB19_1139
; %bb.1140:
	s_and_b32 s8, s37, 3
	s_cmp_eq_u32 s8, 0
	s_cbranch_scc0 .LBB19_1144
	s_branch .LBB19_1146
.LBB19_1141:
                                        ; implicit-def: $vgpr6
                                        ; implicit-def: $vgpr13
	s_branch .LBB19_1147
.LBB19_1142:
	v_mov_b32_e32 v6, 0
	v_mov_b32_e32 v13, 0
	s_branch .LBB19_1146
.LBB19_1143:
	v_mov_b32_e32 v6, 0
	v_mov_b32_e32 v13, 0
	;; [unrolled: 1-line block ×3, first 2 shown]
	s_and_b32 s8, s37, 3
	s_cmp_eq_u32 s8, 0
	s_cbranch_scc1 .LBB19_1146
.LBB19_1144:
	s_lshl_b32 s2, s36, 3
	s_add_u32 s2, s34, s2
	s_addc_u32 s3, s35, 0
	s_add_u32 s2, s2, 0xc4
	s_addc_u32 s3, s3, 0
	s_mul_i32 s6, s36, 12
	s_add_u32 s6, s34, s6
	s_addc_u32 s7, s35, 0
.LBB19_1145:                            ; =>This Inner Loop Header: Depth=1
	s_load_dwordx2 s[10:11], s[6:7], 0x4
	s_load_dword s9, s[6:7], 0xc
	s_load_dwordx2 s[12:13], s[2:3], 0x0
	s_add_u32 s6, s6, 12
	s_addc_u32 s7, s7, 0
	s_waitcnt lgkmcnt(0)
	v_mul_hi_u32 v1, s11, v0
	s_add_u32 s2, s2, 8
	s_addc_u32 s3, s3, 0
	s_add_i32 s8, s8, -1
	v_add_u32_e32 v1, v0, v1
	v_lshrrev_b32_e32 v1, s9, v1
	v_mul_lo_u32 v2, v1, s10
	s_cmp_lg_u32 s8, 0
	v_sub_u32_e32 v0, v0, v2
	v_mad_u64_u32 v[6:7], s[10:11], v0, s12, v[6:7]
	v_mad_u64_u32 v[13:14], s[10:11], v0, s13, v[13:14]
	v_mov_b32_e32 v0, v1
	s_cbranch_scc1 .LBB19_1145
.LBB19_1146:
	s_cbranch_execnz .LBB19_1149
.LBB19_1147:
	s_load_dwordx4 s[8:11], s[34:35], 0x4
	s_load_dwordx2 s[2:3], s[34:35], 0xc4
	s_cmp_lt_u32 s33, 2
	s_waitcnt lgkmcnt(0)
	v_mul_hi_u32 v0, s9, v8
	v_add_u32_e32 v0, v8, v0
	v_lshrrev_b32_e32 v0, s10, v0
	v_mul_lo_u32 v1, v0, s8
	v_sub_u32_e32 v1, v8, v1
	v_mul_lo_u32 v6, v1, s2
	v_mul_lo_u32 v13, v1, s3
	s_cbranch_scc1 .LBB19_1149
; %bb.1148:
	s_load_dwordx4 s[8:11], s[34:35], 0x10
	s_load_dwordx2 s[2:3], s[34:35], 0xcc
	s_waitcnt lgkmcnt(0)
	v_mul_hi_u32 v1, s9, v0
	v_add_u32_e32 v1, v0, v1
	v_lshrrev_b32_e32 v1, s10, v1
	v_mul_lo_u32 v1, v1, s8
	v_sub_u32_e32 v0, v0, v1
	v_mad_u64_u32 v[6:7], s[6:7], v0, s2, v[6:7]
	v_mad_u64_u32 v[13:14], s[2:3], v0, s3, v[13:14]
.LBB19_1149:
	s_and_b64 vcc, exec, s[0:1]
	v_add_u32_e32 v0, 0x80, v8
	s_cbranch_vccnz .LBB19_1155
; %bb.1150:
	s_cmp_lg_u32 s33, 0
	s_mov_b32 s36, 0
	s_cbranch_scc0 .LBB19_1156
; %bb.1151:
	s_min_u32 s37, s72, 15
	s_add_i32 s37, s37, 1
	s_cmp_eq_u32 s72, 2
	s_cbranch_scc1 .LBB19_1157
; %bb.1152:
	s_and_b32 s36, s37, 28
	s_add_u32 s2, s34, 0xc4
	s_addc_u32 s3, s35, 0
	v_mov_b32_e32 v11, 0
	s_mov_b32 s38, 0
	s_mov_b64 s[6:7], s[34:35]
	v_mov_b32_e32 v4, 0
	v_mov_b32_e32 v1, v0
.LBB19_1153:                            ; =>This Inner Loop Header: Depth=1
	s_load_dwordx8 s[16:23], s[6:7], 0x4
	s_load_dwordx4 s[24:27], s[6:7], 0x24
	s_load_dwordx8 s[8:15], s[2:3], 0x0
	s_add_u32 s6, s6, 48
	s_addc_u32 s7, s7, 0
	s_waitcnt lgkmcnt(0)
	v_mul_hi_u32 v2, s17, v1
	s_add_i32 s38, s38, 4
	s_add_u32 s2, s2, 32
	s_addc_u32 s3, s3, 0
	v_add_u32_e32 v2, v1, v2
	v_lshrrev_b32_e32 v2, s18, v2
	s_waitcnt vmcnt(0)
	v_mul_lo_u32 v3, v2, s16
	v_mul_hi_u32 v5, s20, v2
	s_cmp_lg_u32 s36, s38
	v_sub_u32_e32 v1, v1, v3
	v_add_u32_e32 v3, v2, v5
	v_mul_lo_u32 v5, v1, s8
	v_mul_lo_u32 v7, v1, s9
	v_lshrrev_b32_e32 v1, s21, v3
	v_mul_lo_u32 v3, v1, s19
	v_mul_hi_u32 v9, s23, v1
	v_sub_u32_e32 v2, v2, v3
	v_add_u32_e32 v3, v1, v9
	v_lshrrev_b32_e32 v3, s24, v3
	v_mul_hi_u32 v10, s26, v3
	v_mul_lo_u32 v12, v3, s22
	v_mul_lo_u32 v9, v2, s10
	;; [unrolled: 1-line block ×3, first 2 shown]
	v_sub_u32_e32 v12, v1, v12
	v_add_u32_e32 v1, v3, v10
	v_lshrrev_b32_e32 v1, s27, v1
	v_mul_lo_u32 v10, v1, s25
	v_mul_lo_u32 v14, v12, s12
	;; [unrolled: 1-line block ×3, first 2 shown]
	v_add3_u32 v4, v5, v4, v9
	v_sub_u32_e32 v3, v3, v10
	v_mul_lo_u32 v10, v3, s14
	v_mul_lo_u32 v3, v3, s15
	v_add3_u32 v2, v7, v11, v2
	v_add3_u32 v4, v14, v4, v10
	v_add3_u32 v11, v12, v2, v3
	s_cbranch_scc1 .LBB19_1153
; %bb.1154:
	s_and_b32 s8, s37, 3
	s_cmp_eq_u32 s8, 0
	s_cbranch_scc0 .LBB19_1158
	s_branch .LBB19_1160
.LBB19_1155:
                                        ; implicit-def: $vgpr4
                                        ; implicit-def: $vgpr11
	s_branch .LBB19_1161
.LBB19_1156:
	v_mov_b32_e32 v4, 0
	v_mov_b32_e32 v11, 0
	s_branch .LBB19_1160
.LBB19_1157:
	v_mov_b32_e32 v4, 0
	v_mov_b32_e32 v11, 0
	;; [unrolled: 1-line block ×3, first 2 shown]
	s_and_b32 s8, s37, 3
	s_cmp_eq_u32 s8, 0
	s_cbranch_scc1 .LBB19_1160
.LBB19_1158:
	s_lshl_b32 s2, s36, 3
	s_add_u32 s2, s34, s2
	s_addc_u32 s3, s35, 0
	s_add_u32 s2, s2, 0xc4
	s_addc_u32 s3, s3, 0
	s_mul_i32 s6, s36, 12
	s_add_u32 s6, s34, s6
	s_addc_u32 s7, s35, 0
.LBB19_1159:                            ; =>This Inner Loop Header: Depth=1
	s_load_dwordx2 s[10:11], s[6:7], 0x4
	s_load_dword s9, s[6:7], 0xc
	s_load_dwordx2 s[12:13], s[2:3], 0x0
	s_add_u32 s6, s6, 12
	s_addc_u32 s7, s7, 0
	s_waitcnt lgkmcnt(0)
	v_mul_hi_u32 v2, s11, v1
	s_add_u32 s2, s2, 8
	s_addc_u32 s3, s3, 0
	s_add_i32 s8, s8, -1
	v_add_u32_e32 v2, v1, v2
	v_lshrrev_b32_e32 v2, s9, v2
	s_waitcnt vmcnt(0)
	v_mul_lo_u32 v3, v2, s10
	s_cmp_lg_u32 s8, 0
	v_sub_u32_e32 v1, v1, v3
	v_mad_u64_u32 v[4:5], s[10:11], v1, s12, v[4:5]
	v_mad_u64_u32 v[11:12], s[10:11], v1, s13, v[11:12]
	v_mov_b32_e32 v1, v2
	s_cbranch_scc1 .LBB19_1159
.LBB19_1160:
	s_cbranch_execnz .LBB19_1163
.LBB19_1161:
	s_load_dwordx4 s[8:11], s[34:35], 0x4
	s_load_dwordx2 s[2:3], s[34:35], 0xc4
	s_cmp_lt_u32 s33, 2
	s_waitcnt lgkmcnt(0)
	v_mul_hi_u32 v1, s9, v0
	v_add_u32_e32 v1, v0, v1
	v_lshrrev_b32_e32 v1, s10, v1
	v_mul_lo_u32 v2, v1, s8
	v_sub_u32_e32 v0, v0, v2
	v_mul_lo_u32 v4, v0, s2
	v_mul_lo_u32 v11, v0, s3
	s_cbranch_scc1 .LBB19_1163
; %bb.1162:
	s_load_dwordx4 s[8:11], s[34:35], 0x10
	s_load_dwordx2 s[2:3], s[34:35], 0xcc
	s_waitcnt lgkmcnt(0)
	v_mul_hi_u32 v0, s9, v1
	v_add_u32_e32 v0, v1, v0
	v_lshrrev_b32_e32 v0, s10, v0
	v_mul_lo_u32 v0, v0, s8
	v_sub_u32_e32 v0, v1, v0
	s_waitcnt vmcnt(0)
	v_mad_u64_u32 v[4:5], s[6:7], v0, s2, v[4:5]
	v_mad_u64_u32 v[11:12], s[2:3], v0, s3, v[11:12]
.LBB19_1163:
	s_and_b64 vcc, exec, s[0:1]
	v_add_u32_e32 v0, 0x100, v8
	s_cbranch_vccnz .LBB19_1169
; %bb.1164:
	s_cmp_lg_u32 s33, 0
	s_mov_b32 s36, 0
	s_cbranch_scc0 .LBB19_1170
; %bb.1165:
	s_min_u32 s37, s72, 15
	s_add_i32 s37, s37, 1
	s_cmp_eq_u32 s72, 2
	s_cbranch_scc1 .LBB19_1171
; %bb.1166:
	s_and_b32 s36, s37, 28
	s_add_u32 s2, s34, 0xc4
	s_addc_u32 s3, s35, 0
	v_mov_b32_e32 v9, 0
	s_mov_b32 s38, 0
	s_mov_b64 s[6:7], s[34:35]
	v_mov_b32_e32 v2, 0
	v_mov_b32_e32 v1, v0
.LBB19_1167:                            ; =>This Inner Loop Header: Depth=1
	s_load_dwordx8 s[16:23], s[6:7], 0x4
	s_load_dwordx4 s[24:27], s[6:7], 0x24
	s_load_dwordx8 s[8:15], s[2:3], 0x0
	s_add_u32 s6, s6, 48
	s_addc_u32 s7, s7, 0
	s_waitcnt vmcnt(0) lgkmcnt(0)
	v_mul_hi_u32 v3, s17, v1
	s_add_i32 s38, s38, 4
	s_add_u32 s2, s2, 32
	s_addc_u32 s3, s3, 0
	v_add_u32_e32 v3, v1, v3
	v_lshrrev_b32_e32 v3, s18, v3
	v_mul_lo_u32 v5, v3, s16
	v_mul_hi_u32 v7, s20, v3
	s_cmp_lg_u32 s36, s38
	v_sub_u32_e32 v1, v1, v5
	v_add_u32_e32 v5, v3, v7
	v_mul_lo_u32 v7, v1, s8
	v_mul_lo_u32 v8, v1, s9
	v_lshrrev_b32_e32 v1, s21, v5
	v_mul_lo_u32 v5, v1, s19
	v_mul_hi_u32 v10, s23, v1
	v_sub_u32_e32 v3, v3, v5
	v_add_u32_e32 v5, v1, v10
	v_lshrrev_b32_e32 v5, s24, v5
	v_mul_hi_u32 v12, s26, v5
	v_mul_lo_u32 v14, v5, s22
	v_mul_lo_u32 v10, v3, s10
	;; [unrolled: 1-line block ×3, first 2 shown]
	v_sub_u32_e32 v14, v1, v14
	v_add_u32_e32 v1, v5, v12
	v_lshrrev_b32_e32 v1, s27, v1
	v_mul_lo_u32 v12, v1, s25
	v_mul_lo_u32 v16, v14, s12
	v_mul_lo_u32 v14, v14, s13
	v_add3_u32 v2, v7, v2, v10
	v_sub_u32_e32 v5, v5, v12
	v_mul_lo_u32 v12, v5, s14
	v_mul_lo_u32 v5, v5, s15
	v_add3_u32 v3, v8, v9, v3
	v_add3_u32 v2, v16, v2, v12
	;; [unrolled: 1-line block ×3, first 2 shown]
	s_cbranch_scc1 .LBB19_1167
; %bb.1168:
	s_and_b32 s8, s37, 3
	s_cmp_eq_u32 s8, 0
	s_cbranch_scc0 .LBB19_1172
	s_branch .LBB19_1174
.LBB19_1169:
                                        ; implicit-def: $vgpr2
                                        ; implicit-def: $vgpr9
	s_branch .LBB19_1175
.LBB19_1170:
	v_mov_b32_e32 v2, 0
	v_mov_b32_e32 v9, 0
	s_branch .LBB19_1174
.LBB19_1171:
	v_mov_b32_e32 v2, 0
	v_mov_b32_e32 v9, 0
	;; [unrolled: 1-line block ×3, first 2 shown]
	s_and_b32 s8, s37, 3
	s_cmp_eq_u32 s8, 0
	s_cbranch_scc1 .LBB19_1174
.LBB19_1172:
	s_lshl_b32 s2, s36, 3
	s_add_u32 s2, s34, s2
	s_addc_u32 s3, s35, 0
	s_add_u32 s2, s2, 0xc4
	s_addc_u32 s3, s3, 0
	s_mul_i32 s6, s36, 12
	s_add_u32 s6, s34, s6
	s_addc_u32 s7, s35, 0
.LBB19_1173:                            ; =>This Inner Loop Header: Depth=1
	s_load_dwordx2 s[10:11], s[6:7], 0x4
	s_load_dword s9, s[6:7], 0xc
	s_load_dwordx2 s[12:13], s[2:3], 0x0
	s_add_u32 s6, s6, 12
	s_addc_u32 s7, s7, 0
	s_waitcnt vmcnt(0) lgkmcnt(0)
	v_mul_hi_u32 v3, s11, v1
	s_add_u32 s2, s2, 8
	s_addc_u32 s3, s3, 0
	s_add_i32 s8, s8, -1
	v_add_u32_e32 v3, v1, v3
	v_lshrrev_b32_e32 v5, s9, v3
	v_mul_lo_u32 v3, v5, s10
	s_cmp_lg_u32 s8, 0
	v_sub_u32_e32 v1, v1, v3
	v_mad_u64_u32 v[2:3], s[10:11], v1, s12, v[2:3]
	v_mad_u64_u32 v[9:10], s[10:11], v1, s13, v[9:10]
	v_mov_b32_e32 v1, v5
	s_cbranch_scc1 .LBB19_1173
.LBB19_1174:
	s_cbranch_execnz .LBB19_1177
.LBB19_1175:
	s_load_dwordx4 s[8:11], s[34:35], 0x4
	s_load_dwordx2 s[2:3], s[34:35], 0xc4
	s_cmp_lt_u32 s33, 2
	s_waitcnt lgkmcnt(0)
	v_mul_hi_u32 v1, s9, v0
	v_add_u32_e32 v1, v0, v1
	v_lshrrev_b32_e32 v1, s10, v1
	v_mul_lo_u32 v2, v1, s8
	v_sub_u32_e32 v0, v0, v2
	v_mul_lo_u32 v2, v0, s2
	v_mul_lo_u32 v9, v0, s3
	s_cbranch_scc1 .LBB19_1177
; %bb.1176:
	s_load_dwordx4 s[8:11], s[34:35], 0x10
	s_load_dwordx2 s[2:3], s[34:35], 0xcc
	s_waitcnt lgkmcnt(0)
	v_mul_hi_u32 v0, s9, v1
	v_add_u32_e32 v0, v1, v0
	v_lshrrev_b32_e32 v0, s10, v0
	v_mul_lo_u32 v0, v0, s8
	v_sub_u32_e32 v0, v1, v0
	s_waitcnt vmcnt(0)
	v_mad_u64_u32 v[2:3], s[6:7], v0, s2, v[2:3]
	v_mad_u64_u32 v[9:10], s[2:3], v0, s3, v[9:10]
.LBB19_1177:
	s_and_b64 vcc, exec, s[0:1]
	s_cbranch_vccnz .LBB19_1183
; %bb.1178:
	s_cmp_lg_u32 s33, 0
	s_mov_b32 s26, 0
	s_cbranch_scc0 .LBB19_1184
; %bb.1179:
	s_min_u32 s27, s72, 15
	s_add_i32 s27, s27, 1
	s_cmp_eq_u32 s72, 2
	s_cbranch_scc1 .LBB19_1185
; %bb.1180:
	s_and_b32 s26, s27, 28
	s_add_u32 s6, s34, 0xc4
	s_addc_u32 s7, s35, 0
	v_mov_b32_e32 v7, 0
	s_mov_b32 s36, 0
	s_mov_b64 s[24:25], s[34:35]
	v_mov_b32_e32 v0, 0
	v_mov_b32_e32 v1, v15
.LBB19_1181:                            ; =>This Inner Loop Header: Depth=1
	s_load_dwordx8 s[16:23], s[24:25], 0x4
	s_load_dwordx4 s[0:3], s[24:25], 0x24
	s_load_dwordx8 s[8:15], s[6:7], 0x0
	s_add_u32 s24, s24, 48
	s_addc_u32 s25, s25, 0
	s_waitcnt vmcnt(0) lgkmcnt(0)
	v_mul_hi_u32 v3, s17, v1
	s_add_i32 s36, s36, 4
	s_add_u32 s6, s6, 32
	s_addc_u32 s7, s7, 0
	v_add_u32_e32 v3, v1, v3
	v_lshrrev_b32_e32 v3, s18, v3
	v_mul_lo_u32 v5, v3, s16
	v_mul_hi_u32 v8, s20, v3
	s_cmp_lg_u32 s26, s36
	v_sub_u32_e32 v1, v1, v5
	v_add_u32_e32 v5, v3, v8
	v_mul_lo_u32 v8, v1, s8
	v_mul_lo_u32 v10, v1, s9
	v_lshrrev_b32_e32 v1, s21, v5
	v_mul_lo_u32 v5, v1, s19
	v_mul_hi_u32 v12, s23, v1
	v_sub_u32_e32 v3, v3, v5
	v_add_u32_e32 v5, v1, v12
	v_lshrrev_b32_e32 v5, s0, v5
	v_mul_hi_u32 v14, s2, v5
	v_mul_lo_u32 v16, v5, s22
	v_mul_lo_u32 v12, v3, s10
	;; [unrolled: 1-line block ×3, first 2 shown]
	v_sub_u32_e32 v16, v1, v16
	v_add_u32_e32 v1, v5, v14
	v_lshrrev_b32_e32 v1, s3, v1
	v_mul_lo_u32 v14, v1, s1
	v_mul_lo_u32 v17, v16, s12
	;; [unrolled: 1-line block ×3, first 2 shown]
	v_add3_u32 v0, v8, v0, v12
	v_sub_u32_e32 v5, v5, v14
	v_mul_lo_u32 v14, v5, s14
	v_mul_lo_u32 v5, v5, s15
	v_add3_u32 v3, v10, v7, v3
	v_add3_u32 v0, v17, v0, v14
	;; [unrolled: 1-line block ×3, first 2 shown]
	s_cbranch_scc1 .LBB19_1181
; %bb.1182:
	s_and_b32 s6, s27, 3
	s_cmp_eq_u32 s6, 0
	s_cbranch_scc0 .LBB19_1186
	s_branch .LBB19_1188
.LBB19_1183:
                                        ; implicit-def: $vgpr0
                                        ; implicit-def: $vgpr7
	s_branch .LBB19_1189
.LBB19_1184:
	v_mov_b32_e32 v0, 0
	v_mov_b32_e32 v7, 0
	s_branch .LBB19_1188
.LBB19_1185:
	v_mov_b32_e32 v0, 0
	v_mov_b32_e32 v7, 0
	;; [unrolled: 1-line block ×3, first 2 shown]
	s_and_b32 s6, s27, 3
	s_cmp_eq_u32 s6, 0
	s_cbranch_scc1 .LBB19_1188
.LBB19_1186:
	s_lshl_b32 s0, s26, 3
	s_add_u32 s0, s34, s0
	s_addc_u32 s1, s35, 0
	s_add_u32 s0, s0, 0xc4
	s_addc_u32 s1, s1, 0
	s_mul_i32 s2, s26, 12
	s_add_u32 s2, s34, s2
	s_addc_u32 s3, s35, 0
.LBB19_1187:                            ; =>This Inner Loop Header: Depth=1
	s_load_dwordx2 s[8:9], s[2:3], 0x4
	s_load_dword s7, s[2:3], 0xc
	s_load_dwordx2 s[10:11], s[0:1], 0x0
	s_add_u32 s2, s2, 12
	s_addc_u32 s3, s3, 0
	s_waitcnt vmcnt(0) lgkmcnt(0)
	v_mul_hi_u32 v3, s9, v1
	s_add_u32 s0, s0, 8
	s_addc_u32 s1, s1, 0
	s_add_i32 s6, s6, -1
	v_add_u32_e32 v3, v1, v3
	v_lshrrev_b32_e32 v3, s7, v3
	v_mul_lo_u32 v5, v3, s8
	s_cmp_lg_u32 s6, 0
	v_sub_u32_e32 v5, v1, v5
	v_mad_u64_u32 v[0:1], s[8:9], v5, s10, v[0:1]
	v_mad_u64_u32 v[7:8], s[8:9], v5, s11, v[7:8]
	v_mov_b32_e32 v1, v3
	s_cbranch_scc1 .LBB19_1187
.LBB19_1188:
	s_cbranch_execnz .LBB19_1191
.LBB19_1189:
	s_load_dwordx4 s[0:3], s[34:35], 0x4
	s_load_dwordx2 s[6:7], s[34:35], 0xc4
	s_cmp_lt_u32 s33, 2
	s_waitcnt lgkmcnt(0)
	v_mul_hi_u32 v0, s1, v15
	v_add_u32_e32 v0, v15, v0
	v_lshrrev_b32_e32 v1, s2, v0
	v_mul_lo_u32 v0, v1, s0
	s_waitcnt vmcnt(0)
	v_sub_u32_e32 v3, v15, v0
	v_mul_lo_u32 v0, v3, s6
	v_mul_lo_u32 v7, v3, s7
	s_cbranch_scc1 .LBB19_1191
; %bb.1190:
	s_load_dwordx4 s[0:3], s[34:35], 0x10
	s_load_dwordx2 s[6:7], s[34:35], 0xcc
	s_waitcnt lgkmcnt(0)
	v_mul_hi_u32 v3, s1, v1
	v_add_u32_e32 v3, v1, v3
	v_lshrrev_b32_e32 v3, s2, v3
	v_mul_lo_u32 v3, v3, s0
	v_sub_u32_e32 v3, v1, v3
	v_mad_u64_u32 v[0:1], s[0:1], v3, s6, v[0:1]
	v_mad_u64_u32 v[7:8], s[0:1], v3, s7, v[7:8]
.LBB19_1191:
	s_load_dwordx4 s[8:11], s[34:35], 0x148
	s_load_dword s16, s[4:5], 0x160
	s_waitcnt lgkmcnt(0)
	v_mov_b32_e32 v1, s11
	s_bfe_u32 s14, s16, 0x80010
	v_add_co_u32_e32 v12, vcc, s10, v13
	s_cmp_lt_i32 s14, 11
	v_addc_co_u32_e32 v13, vcc, 0, v1, vcc
	s_cbranch_scc1 .LBB19_1198
; %bb.1192:
	s_and_b32 s15, 0xffff, s14
	s_cmp_gt_i32 s15, 25
	s_mov_b64 s[4:5], 0
	s_cbranch_scc0 .LBB19_1200
; %bb.1193:
	s_cmp_gt_i32 s15, 28
	s_cbranch_scc0 .LBB19_1201
; %bb.1194:
	s_cmp_gt_i32 s15, 43
	;; [unrolled: 3-line block ×3, first 2 shown]
	s_cbranch_scc0 .LBB19_1203
; %bb.1196:
	s_cmp_eq_u32 s15, 46
	s_mov_b64 s[2:3], 0
	s_cbranch_scc0 .LBB19_1206
; %bb.1197:
	global_load_dword v1, v[12:13], off
	s_mov_b64 s[0:1], 0
	s_mov_b64 s[6:7], -1
	s_waitcnt vmcnt(0)
	v_lshlrev_b32_e32 v1, 16, v1
	s_branch .LBB19_1207
.LBB19_1198:
	s_mov_b64 s[6:7], 0
                                        ; implicit-def: $vgpr1
	s_mov_b64 s[2:3], s[28:29]
	s_cbranch_execnz .LBB19_1270
.LBB19_1199:
	s_andn2_b64 vcc, exec, s[6:7]
	s_cbranch_vccz .LBB19_1315
	s_branch .LBB19_1829
.LBB19_1200:
	s_mov_b64 s[6:7], 0
	s_mov_b64 s[0:1], 0
                                        ; implicit-def: $vgpr1
	s_cbranch_execnz .LBB19_1235
	s_branch .LBB19_1266
.LBB19_1201:
	s_mov_b64 s[2:3], -1
	s_mov_b64 s[6:7], 0
	s_mov_b64 s[0:1], 0
                                        ; implicit-def: $vgpr1
	s_branch .LBB19_1216
.LBB19_1202:
	s_mov_b64 s[6:7], 0
	s_mov_b64 s[0:1], 0
                                        ; implicit-def: $vgpr1
	s_cbranch_execnz .LBB19_1212
	s_branch .LBB19_1215
.LBB19_1203:
	s_mov_b64 s[2:3], -1
	s_mov_b64 s[6:7], 0
	s_mov_b64 s[0:1], 0
                                        ; implicit-def: $vgpr1
	s_branch .LBB19_1207
.LBB19_1204:
	s_andn2_saveexec_b64 s[14:15], s[14:15]
	s_cbranch_execz .LBB19_1047
.LBB19_1205:
	s_mov_b32 s16, 0x46000000
	v_add_f32_e64 v0, |v1|, s16
	v_and_b32_e32 v0, 0xff, v0
	v_cmp_ne_u32_e32 vcc, 0, v0
	s_andn2_b64 s[12:13], s[12:13], exec
	s_and_b64 s[16:17], vcc, exec
	s_or_b64 s[12:13], s[12:13], s[16:17]
	s_or_b64 exec, exec, s[14:15]
	v_mov_b32_e32 v2, 0
	s_and_saveexec_b64 s[14:15], s[12:13]
	s_cbranch_execnz .LBB19_1048
	s_branch .LBB19_1049
.LBB19_1206:
	s_mov_b64 s[0:1], -1
                                        ; implicit-def: $vgpr1
	s_mov_b64 s[6:7], 0
.LBB19_1207:
	s_and_b64 vcc, exec, s[2:3]
	s_cbranch_vccz .LBB19_1210
; %bb.1208:
	s_cmp_eq_u32 s15, 44
	s_cbranch_scc0 .LBB19_1211
; %bb.1209:
	global_load_ubyte v1, v[12:13], off
	s_movk_i32 s2, 0xff
	s_waitcnt vmcnt(1)
	v_mov_b32_e32 v3, 0x7f800001
	v_mov_b32_e32 v5, 0x400000
	s_mov_b64 s[0:1], 0
	s_mov_b64 s[6:7], -1
	s_waitcnt vmcnt(0)
	v_lshlrev_b32_e32 v8, 23, v1
	v_cmp_ne_u32_e32 vcc, s2, v1
	v_cndmask_b32_e32 v3, v3, v8, vcc
	v_cmp_ne_u32_e32 vcc, 0, v1
	v_cndmask_b32_e32 v1, v5, v3, vcc
.LBB19_1210:
	s_branch .LBB19_1215
.LBB19_1211:
	s_mov_b64 s[0:1], -1
                                        ; implicit-def: $vgpr1
	s_branch .LBB19_1215
.LBB19_1212:
	s_cmp_eq_u32 s15, 29
	s_cbranch_scc0 .LBB19_1214
; %bb.1213:
	global_load_dwordx2 v[14:15], v[12:13], off
	s_mov_b64 s[0:1], 0
	s_mov_b64 s[6:7], -1
	s_mov_b64 s[2:3], 0
	s_waitcnt vmcnt(0)
	v_ffbh_u32_e32 v1, v15
	v_min_u32_e32 v1, 32, v1
	v_lshlrev_b64 v[14:15], v1, v[14:15]
	v_sub_u32_e32 v1, 32, v1
	v_min_u32_e32 v3, 1, v14
	v_or_b32_e32 v3, v15, v3
	v_cvt_f32_u32_e32 v3, v3
	v_ldexp_f32 v1, v3, v1
	s_branch .LBB19_1216
.LBB19_1214:
	s_mov_b64 s[0:1], -1
                                        ; implicit-def: $vgpr1
.LBB19_1215:
	s_mov_b64 s[2:3], 0
.LBB19_1216:
	s_and_b64 vcc, exec, s[2:3]
	s_cbranch_vccz .LBB19_1234
; %bb.1217:
	s_cmp_lt_i32 s15, 27
	s_cbranch_scc1 .LBB19_1220
; %bb.1218:
	s_cmp_gt_i32 s15, 27
	s_cbranch_scc0 .LBB19_1221
; %bb.1219:
	global_load_dword v1, v[12:13], off
	s_mov_b64 s[2:3], 0
	s_waitcnt vmcnt(0)
	v_cvt_f32_u32_e32 v1, v1
	s_branch .LBB19_1222
.LBB19_1220:
	s_mov_b64 s[2:3], -1
                                        ; implicit-def: $vgpr1
	s_branch .LBB19_1225
.LBB19_1221:
	s_mov_b64 s[2:3], -1
                                        ; implicit-def: $vgpr1
.LBB19_1222:
	s_andn2_b64 vcc, exec, s[2:3]
	s_cbranch_vccnz .LBB19_1224
; %bb.1223:
	global_load_ushort v1, v[12:13], off
	s_waitcnt vmcnt(0)
	v_cvt_f32_u32_e32 v1, v1
.LBB19_1224:
	s_mov_b64 s[2:3], 0
.LBB19_1225:
	s_andn2_b64 vcc, exec, s[2:3]
	s_cbranch_vccnz .LBB19_1233
; %bb.1226:
	global_load_ubyte v3, v[12:13], off
	s_movk_i32 s2, 0x7f
	s_waitcnt vmcnt(0)
	v_cmp_lt_i16_e32 vcc, s2, v3
	s_mov_b64 s[2:3], 0
	s_and_saveexec_b64 s[6:7], vcc
	s_xor_b64 s[6:7], exec, s[6:7]
	s_cbranch_execz .LBB19_1246
; %bb.1227:
	s_movk_i32 s2, 0x80
	v_cmp_eq_u16_e32 vcc, s2, v3
	s_mov_b64 s[2:3], -1
	s_and_saveexec_b64 s[12:13], vcc
; %bb.1228:
	s_xor_b64 s[2:3], exec, -1
; %bb.1229:
	s_or_b64 exec, exec, s[12:13]
	s_and_b64 s[2:3], s[2:3], exec
	s_or_saveexec_b64 s[6:7], s[6:7]
	v_mov_b32_e32 v1, 0x7f800001
	s_xor_b64 exec, exec, s[6:7]
	s_cbranch_execnz .LBB19_1247
.LBB19_1230:
	s_or_b64 exec, exec, s[6:7]
	s_and_saveexec_b64 s[6:7], s[2:3]
	s_cbranch_execz .LBB19_1232
.LBB19_1231:
	v_lshlrev_b32_e32 v1, 24, v3
	v_and_b32_e32 v3, 0xffff, v3
	v_and_b32_e32 v5, 7, v3
	v_ffbh_u32_e32 v10, v5
	v_min_u32_e32 v10, 32, v10
	v_subrev_u32_e32 v14, 28, v10
	v_bfe_u32 v8, v3, 3, 4
	v_lshlrev_b32_e32 v3, v14, v3
	v_sub_u32_e32 v10, 29, v10
	v_and_b32_e32 v3, 7, v3
	v_cmp_eq_u32_e32 vcc, 0, v8
	v_cndmask_b32_e32 v8, v8, v10, vcc
	v_cndmask_b32_e32 v3, v5, v3, vcc
	v_mov_b32_e32 v5, 0x3b800000
	v_lshlrev_b32_e32 v3, 20, v3
	v_and_b32_e32 v1, 0x80000000, v1
	v_lshl_add_u32 v5, v8, 23, v5
	v_or3_b32 v1, v1, v5, v3
.LBB19_1232:
	s_or_b64 exec, exec, s[6:7]
.LBB19_1233:
	s_mov_b64 s[6:7], -1
.LBB19_1234:
	s_branch .LBB19_1266
.LBB19_1235:
	s_cmp_gt_i32 s15, 22
	s_cbranch_scc0 .LBB19_1245
; %bb.1236:
	s_cmp_lt_i32 s15, 24
	s_cbranch_scc1 .LBB19_1248
; %bb.1237:
	s_cmp_gt_i32 s15, 24
	s_cbranch_scc0 .LBB19_1249
; %bb.1238:
	global_load_ubyte v3, v[12:13], off
	s_movk_i32 s2, 0x7f
	s_waitcnt vmcnt(0)
	v_cmp_lt_i16_e32 vcc, s2, v3
	s_mov_b64 s[2:3], 0
	s_and_saveexec_b64 s[4:5], vcc
	s_xor_b64 s[4:5], exec, s[4:5]
	s_cbranch_execz .LBB19_1260
; %bb.1239:
	s_movk_i32 s2, 0x80
	v_cmp_eq_u16_e32 vcc, s2, v3
	s_mov_b64 s[2:3], -1
	s_and_saveexec_b64 s[6:7], vcc
; %bb.1240:
	s_xor_b64 s[2:3], exec, -1
; %bb.1241:
	s_or_b64 exec, exec, s[6:7]
	s_and_b64 s[2:3], s[2:3], exec
	s_or_saveexec_b64 s[4:5], s[4:5]
	v_mov_b32_e32 v1, 0x7f800001
	s_xor_b64 exec, exec, s[4:5]
	s_cbranch_execnz .LBB19_1261
.LBB19_1242:
	s_or_b64 exec, exec, s[4:5]
	s_and_saveexec_b64 s[4:5], s[2:3]
	s_cbranch_execz .LBB19_1244
.LBB19_1243:
	v_lshlrev_b32_e32 v1, 24, v3
	v_and_b32_e32 v3, 0xffff, v3
	v_and_b32_e32 v5, 3, v3
	v_ffbh_u32_e32 v10, v5
	v_min_u32_e32 v10, 32, v10
	v_subrev_u32_e32 v14, 29, v10
	v_bfe_u32 v8, v3, 2, 5
	v_lshlrev_b32_e32 v3, v14, v3
	v_sub_u32_e32 v10, 30, v10
	v_and_b32_e32 v3, 3, v3
	v_cmp_eq_u32_e32 vcc, 0, v8
	v_cndmask_b32_e32 v8, v8, v10, vcc
	v_cndmask_b32_e32 v3, v5, v3, vcc
	v_mov_b32_e32 v5, 0x37800000
	v_lshlrev_b32_e32 v3, 21, v3
	v_and_b32_e32 v1, 0x80000000, v1
	v_lshl_add_u32 v5, v8, 23, v5
	v_or3_b32 v1, v1, v5, v3
.LBB19_1244:
	s_or_b64 exec, exec, s[4:5]
	s_mov_b64 s[2:3], 0
	s_branch .LBB19_1250
.LBB19_1245:
                                        ; implicit-def: $vgpr1
	s_mov_b64 s[4:5], 0
	s_branch .LBB19_1256
.LBB19_1246:
	s_or_saveexec_b64 s[6:7], s[6:7]
	v_mov_b32_e32 v1, 0x7f800001
	s_xor_b64 exec, exec, s[6:7]
	s_cbranch_execz .LBB19_1230
.LBB19_1247:
	v_cmp_ne_u16_e32 vcc, 0, v3
	s_andn2_b64 s[2:3], s[2:3], exec
	s_and_b64 s[12:13], vcc, exec
	v_mov_b32_e32 v1, 0
	s_or_b64 s[2:3], s[2:3], s[12:13]
	s_or_b64 exec, exec, s[6:7]
	s_and_saveexec_b64 s[6:7], s[2:3]
	s_cbranch_execnz .LBB19_1231
	s_branch .LBB19_1232
.LBB19_1248:
	s_mov_b64 s[2:3], -1
                                        ; implicit-def: $vgpr1
	s_branch .LBB19_1253
.LBB19_1249:
	s_mov_b64 s[2:3], -1
                                        ; implicit-def: $vgpr1
.LBB19_1250:
	s_and_b64 vcc, exec, s[2:3]
	s_cbranch_vccz .LBB19_1252
; %bb.1251:
	global_load_ubyte v1, v[12:13], off
	s_mov_b32 s2, 0x7f800000
	s_waitcnt vmcnt(0)
	v_lshlrev_b32_e32 v1, 24, v1
	v_and_b32_e32 v3, 0x7f000000, v1
	v_ffbh_u32_e32 v5, v3
	v_min_u32_e32 v5, 32, v5
	v_sub_u32_e64 v5, v5, 4 clamp
	v_lshlrev_b32_e32 v10, v5, v3
	v_lshlrev_b32_e32 v5, 23, v5
	v_lshrrev_b32_e32 v10, 4, v10
	v_add_u32_e32 v8, 0x1000000, v3
	v_sub_u32_e32 v5, v10, v5
	v_ashrrev_i32_e32 v8, 8, v8
	v_add_u32_e32 v5, 0x3c000000, v5
	v_and_or_b32 v5, v8, s2, v5
	v_cmp_ne_u32_e32 vcc, 0, v3
	v_cndmask_b32_e32 v3, 0, v5, vcc
	s_brev_b32 s2, 1
	v_and_or_b32 v1, v1, s2, v3
.LBB19_1252:
	s_mov_b64 s[2:3], 0
.LBB19_1253:
	s_andn2_b64 vcc, exec, s[2:3]
	s_cbranch_vccnz .LBB19_1255
; %bb.1254:
	global_load_ubyte v1, v[12:13], off
	s_movk_i32 s2, 0x7f00
	s_brev_b32 s3, 16
	s_waitcnt vmcnt(0)
	v_lshlrev_b16_e32 v3, 8, v1
	v_lshlrev_b32_e32 v1, 25, v1
	v_lshrrev_b32_e32 v5, 4, v1
	v_and_or_b32 v8, v3, s2, 0.5
	v_or_b32_e32 v5, 0x70000000, v5
	v_add_f32_e32 v8, -0.5, v8
	v_mul_f32_e32 v5, 0x7800000, v5
	v_cmp_gt_u32_e32 vcc, s3, v1
	v_bfe_i32 v3, v3, 0, 16
	v_cndmask_b32_e32 v1, v5, v8, vcc
	s_brev_b32 s2, 1
	v_and_or_b32 v1, v3, s2, v1
.LBB19_1255:
	s_mov_b64 s[6:7], -1
	s_mov_b64 s[4:5], 0
	s_cbranch_execnz .LBB19_1266
.LBB19_1256:
	s_cmp_gt_i32 s15, 14
	s_cbranch_scc0 .LBB19_1259
; %bb.1257:
	s_cmp_eq_u32 s15, 15
	s_cbranch_scc0 .LBB19_1262
; %bb.1258:
	global_load_ushort v1, v[12:13], off
	s_mov_b64 s[0:1], 0
	s_mov_b64 s[6:7], -1
	s_waitcnt vmcnt(0)
	v_lshlrev_b32_e32 v1, 16, v1
	s_branch .LBB19_1263
.LBB19_1259:
	s_mov_b64 s[2:3], -1
                                        ; implicit-def: $vgpr1
	s_branch .LBB19_1264
.LBB19_1260:
	s_or_saveexec_b64 s[4:5], s[4:5]
	v_mov_b32_e32 v1, 0x7f800001
	s_xor_b64 exec, exec, s[4:5]
	s_cbranch_execz .LBB19_1242
.LBB19_1261:
	v_cmp_ne_u16_e32 vcc, 0, v3
	s_andn2_b64 s[2:3], s[2:3], exec
	s_and_b64 s[6:7], vcc, exec
	v_mov_b32_e32 v1, 0
	s_or_b64 s[2:3], s[2:3], s[6:7]
	s_or_b64 exec, exec, s[4:5]
	s_and_saveexec_b64 s[4:5], s[2:3]
	s_cbranch_execnz .LBB19_1243
	s_branch .LBB19_1244
.LBB19_1262:
	s_mov_b64 s[0:1], -1
                                        ; implicit-def: $vgpr1
.LBB19_1263:
	s_mov_b64 s[2:3], 0
.LBB19_1264:
	s_and_b64 vcc, exec, s[2:3]
	s_cbranch_vccz .LBB19_1266
; %bb.1265:
	s_cmp_lg_u32 s15, 11
	s_mov_b64 s[4:5], -1
	s_cselect_b64 s[0:1], -1, 0
.LBB19_1266:
	s_and_b64 vcc, exec, s[0:1]
	s_mov_b64 s[2:3], s[28:29]
	s_cbranch_vccnz .LBB19_1339
; %bb.1267:
	s_andn2_b64 vcc, exec, s[4:5]
	s_cbranch_vccnz .LBB19_1269
.LBB19_1268:
	global_load_ubyte v1, v[12:13], off
	s_mov_b64 s[6:7], -1
	s_waitcnt vmcnt(0)
	v_cmp_ne_u16_e32 vcc, 0, v1
	v_cndmask_b32_e64 v1, 0, 1.0, vcc
.LBB19_1269:
	s_branch .LBB19_1199
.LBB19_1270:
	s_and_b32 s4, 0xffff, s14
	s_cmp_lt_i32 s4, 5
	s_cbranch_scc1 .LBB19_1275
; %bb.1271:
	s_cmp_lt_i32 s4, 8
	s_cbranch_scc1 .LBB19_1276
; %bb.1272:
	;; [unrolled: 3-line block ×3, first 2 shown]
	s_cmp_gt_i32 s4, 9
	s_cbranch_scc0 .LBB19_1278
; %bb.1274:
	global_load_dwordx2 v[14:15], v[12:13], off
	s_mov_b64 s[0:1], 0
	s_waitcnt vmcnt(0)
	v_cvt_f32_f64_e32 v1, v[14:15]
	s_branch .LBB19_1279
.LBB19_1275:
                                        ; implicit-def: $vgpr1
	s_branch .LBB19_1296
.LBB19_1276:
                                        ; implicit-def: $vgpr1
	s_branch .LBB19_1285
.LBB19_1277:
	s_mov_b64 s[0:1], -1
                                        ; implicit-def: $vgpr1
	s_branch .LBB19_1282
.LBB19_1278:
	s_mov_b64 s[0:1], -1
                                        ; implicit-def: $vgpr1
.LBB19_1279:
	s_andn2_b64 vcc, exec, s[0:1]
	s_cbranch_vccnz .LBB19_1281
; %bb.1280:
	global_load_dword v1, v[12:13], off
.LBB19_1281:
	s_mov_b64 s[0:1], 0
.LBB19_1282:
	s_andn2_b64 vcc, exec, s[0:1]
	s_cbranch_vccnz .LBB19_1284
; %bb.1283:
	global_load_dword v1, v[12:13], off
	s_waitcnt vmcnt(0)
	v_cvt_f32_f16_e32 v1, v1
.LBB19_1284:
	s_cbranch_execnz .LBB19_1295
.LBB19_1285:
	s_cmp_lt_i32 s4, 6
	s_cbranch_scc1 .LBB19_1288
; %bb.1286:
	s_cmp_gt_i32 s4, 6
	s_cbranch_scc0 .LBB19_1289
; %bb.1287:
	global_load_dwordx2 v[14:15], v[12:13], off
	s_mov_b64 s[0:1], 0
	s_waitcnt vmcnt(0)
	v_cvt_f32_f64_e32 v1, v[14:15]
	s_branch .LBB19_1290
.LBB19_1288:
	s_mov_b64 s[0:1], -1
                                        ; implicit-def: $vgpr1
	s_branch .LBB19_1293
.LBB19_1289:
	s_mov_b64 s[0:1], -1
                                        ; implicit-def: $vgpr1
.LBB19_1290:
	s_andn2_b64 vcc, exec, s[0:1]
	s_cbranch_vccnz .LBB19_1292
; %bb.1291:
	global_load_dword v1, v[12:13], off
.LBB19_1292:
	s_mov_b64 s[0:1], 0
.LBB19_1293:
	s_andn2_b64 vcc, exec, s[0:1]
	s_cbranch_vccnz .LBB19_1295
; %bb.1294:
	global_load_ushort v1, v[12:13], off
	s_waitcnt vmcnt(0)
	v_cvt_f32_f16_e32 v1, v1
.LBB19_1295:
	s_cbranch_execnz .LBB19_1314
.LBB19_1296:
	s_cmp_lt_i32 s4, 2
	s_cbranch_scc1 .LBB19_1300
; %bb.1297:
	s_cmp_lt_i32 s4, 3
	s_cbranch_scc1 .LBB19_1301
; %bb.1298:
	s_cmp_gt_i32 s4, 3
	s_cbranch_scc0 .LBB19_1302
; %bb.1299:
	global_load_dwordx2 v[14:15], v[12:13], off
	s_mov_b64 s[0:1], 0
	s_waitcnt vmcnt(0)
	v_xor_b32_e32 v3, v14, v15
	v_ffbh_i32_e32 v1, v15
	v_ashrrev_i32_e32 v3, 31, v3
	v_add_u32_e32 v1, -1, v1
	v_add_u32_e32 v3, 32, v3
	v_min_u32_e32 v1, v1, v3
	v_lshlrev_b64 v[14:15], v1, v[14:15]
	v_sub_u32_e32 v1, 32, v1
	v_min_u32_e32 v3, 1, v14
	v_or_b32_e32 v3, v15, v3
	v_cvt_f32_i32_e32 v3, v3
	v_ldexp_f32 v1, v3, v1
	s_branch .LBB19_1303
.LBB19_1300:
                                        ; implicit-def: $vgpr1
	s_branch .LBB19_1309
.LBB19_1301:
	s_mov_b64 s[0:1], -1
                                        ; implicit-def: $vgpr1
	s_branch .LBB19_1306
.LBB19_1302:
	s_mov_b64 s[0:1], -1
                                        ; implicit-def: $vgpr1
.LBB19_1303:
	s_andn2_b64 vcc, exec, s[0:1]
	s_cbranch_vccnz .LBB19_1305
; %bb.1304:
	global_load_dword v1, v[12:13], off
	s_waitcnt vmcnt(0)
	v_cvt_f32_i32_e32 v1, v1
.LBB19_1305:
	s_mov_b64 s[0:1], 0
.LBB19_1306:
	s_andn2_b64 vcc, exec, s[0:1]
	s_cbranch_vccnz .LBB19_1308
; %bb.1307:
	global_load_sshort v1, v[12:13], off
	s_waitcnt vmcnt(0)
	v_cvt_f32_i32_e32 v1, v1
.LBB19_1308:
	s_cbranch_execnz .LBB19_1314
.LBB19_1309:
	s_cmp_gt_i32 s4, 0
	s_cbranch_scc0 .LBB19_1311
; %bb.1310:
	global_load_sbyte v1, v[12:13], off
	s_mov_b64 s[0:1], 0
	s_waitcnt vmcnt(0)
	v_cvt_f32_i32_e32 v1, v1
	s_branch .LBB19_1312
.LBB19_1311:
	s_mov_b64 s[0:1], -1
                                        ; implicit-def: $vgpr1
.LBB19_1312:
	s_andn2_b64 vcc, exec, s[0:1]
	s_cbranch_vccnz .LBB19_1314
; %bb.1313:
	global_load_ubyte v1, v[12:13], off
	s_waitcnt vmcnt(0)
	v_cvt_f32_ubyte0_e32 v1, v1
.LBB19_1314:
.LBB19_1315:
	s_mov_b32 s0, 0x41000000
	s_waitcnt vmcnt(0)
	v_cmp_le_f32_e64 s[0:1], |v1|, s0
                                        ; implicit-def: $vgpr5
	s_and_saveexec_b64 s[4:5], s[0:1]
	s_xor_b64 s[4:5], exec, s[4:5]
	s_cbranch_execz .LBB19_1321
; %bb.1316:
	v_fma_f32 v3, |v1|, 0.5, -2.0
	v_mov_b32_e32 v5, 0xa3c2be86
	v_fmac_f32_e32 v5, 0x224cf950, v3
	v_mov_b32_e32 v8, 0xa24cf950
	v_fmac_f32_e32 v8, v3, v5
	v_add_f32_e32 v8, 0x25331f1f, v8
	v_fma_f32 v5, v3, v8, -v5
	v_add_f32_e32 v5, 0xa69f5554, v5
	v_fma_f32 v8, v3, v5, -v8
	;; [unrolled: 2-line block ×25, first 2 shown]
	v_add_f32_e32 v5, 0xbe34a688, v5
	s_mov_b32 s0, 0x3fb8aa3b
	v_fma_f32 v3, v3, v5, -v8
	v_mul_f32_e64 v5, |v1|, s0
	v_rndne_f32_e32 v10, v5
	v_sub_f32_e32 v12, v5, v10
	v_fma_f32 v5, |v1|, s0, -v5
	s_mov_b32 s0, 0x32a5705f
	v_fma_f32 v5, |v1|, s0, v5
	v_add_f32_e32 v5, v12, v5
	v_exp_f32_e32 v5, v5
	v_cvt_i32_f32_e32 v10, v10
	s_mov_b32 s0, 0xc2ce8ed0
	v_add_f32_e32 v3, 0x3e81531c, v3
	v_cmp_nlt_f32_e64 s[0:1], |v1|, s0
	v_ldexp_f32 v5, v5, v10
	v_sub_f32_e32 v3, v3, v8
	v_cndmask_b32_e64 v5, 0, v5, s[0:1]
	s_mov_b32 s0, 0x42b17218
	v_mul_f32_e32 v3, 0.5, v3
	v_mov_b32_e32 v8, 0x7f800000
	v_cmp_ngt_f32_e64 s[0:1], |v1|, s0
	v_cmp_ngt_f32_e32 vcc, 0, v1
	v_mul_f32_e64 v3, |v1|, v3
	v_cndmask_b32_e64 v1, v8, v5, s[0:1]
                                        ; implicit-def: $vgpr5
	s_and_saveexec_b64 s[0:1], vcc
	s_xor_b64 s[0:1], exec, s[0:1]
; %bb.1317:
	v_mul_f32_e32 v5, v1, v3
                                        ; implicit-def: $vgpr1
                                        ; implicit-def: $vgpr3
; %bb.1318:
	s_andn2_saveexec_b64 s[0:1], s[0:1]
; %bb.1319:
	v_mul_f32_e64 v5, v3, -v1
; %bb.1320:
	s_or_b64 exec, exec, s[0:1]
                                        ; implicit-def: $vgpr1
.LBB19_1321:
	s_andn2_saveexec_b64 s[4:5], s[4:5]
	s_cbranch_execz .LBB19_1327
; %bb.1322:
	v_and_b32_e32 v3, 0x7fffffff, v1
	s_mov_b32 s6, 0x42000000
	v_div_scale_f32 v5, s[0:1], v3, v3, s6
	v_div_scale_f32 v3, vcc, s6, v3, s6
	s_mov_b32 s7, 0x3fb8aa3b
	s_mov_b32 s12, 0x32a5705f
	v_mov_b32_e32 v8, 0x22a2dc57
	v_mov_b32_e32 v12, 0xa30aab6e
	v_cmp_ngt_f32_e64 s[0:1], 0, v1
	v_rcp_f32_e32 v10, v5
	v_fma_f32 v13, -v5, v10, 1.0
	v_fmac_f32_e32 v10, v13, v10
	v_mul_f32_e32 v13, v3, v10
	v_fma_f32 v14, -v5, v13, v3
	v_fmac_f32_e32 v13, v14, v10
	v_fma_f32 v3, -v5, v13, v3
	v_div_fmas_f32 v3, v3, v10, v13
	v_mul_f32_e64 v5, |v1|, s7
	v_rndne_f32_e32 v10, v5
	v_fma_f32 v13, |v1|, s7, -v5
	v_sub_f32_e32 v5, v5, v10
	v_fma_f32 v13, |v1|, s12, v13
	v_add_f32_e32 v5, v5, v13
	v_cvt_i32_f32_e32 v10, v10
	v_exp_f32_e32 v5, v5
	s_mov_b32 s7, 0xc2ce8ed0
	s_mov_b32 s12, 0x42b17218
	v_cmp_nlt_f32_e64 vcc, |v1|, s7
	v_ldexp_f32 v5, v5, v10
	v_mov_b32_e32 v13, 0x7f800000
	v_cndmask_b32_e32 v5, 0, v5, vcc
	v_cmp_ngt_f32_e64 vcc, |v1|, s12
	v_div_fixup_f32 v3, v3, |v1|, s6
	v_add_f32_e32 v3, -2.0, v3
	v_fmac_f32_e32 v8, 0x230aab6e, v3
	v_fmac_f32_e32 v12, v3, v8
	v_add_f32_e32 v10, 0xa456751e, v12
	v_fma_f32 v8, v3, v10, -v8
	v_add_f32_e32 v8, 0xa4140365, v8
	v_fma_f32 v10, v3, v8, -v10
	;; [unrolled: 2-line block ×22, first 2 shown]
	v_add_f32_e32 v8, 0x3f4750c6, v3
	v_cndmask_b32_e32 v3, v13, v5, vcc
	v_sub_f32_e32 v8, v8, v10
                                        ; implicit-def: $vgpr5
	s_and_saveexec_b64 s[6:7], s[0:1]
	s_xor_b64 s[6:7], exec, s[6:7]
	s_cbranch_execz .LBB19_1324
; %bb.1323:
	s_mov_b32 s0, 0xf800000
	s_mov_b32 s1, 0x4f800000
	v_mul_f32_e64 v5, |v1|, s1
	v_cmp_lt_f32_e64 vcc, |v1|, s0
	v_cndmask_b32_e64 v1, |v1|, v5, vcc
	v_sqrt_f32_e32 v5, v1
	v_mul_f32_e32 v8, 0.5, v8
	v_mul_f32_e32 v3, v3, v8
	v_add_u32_e32 v8, -1, v5
	v_fma_f32 v10, -v8, v5, v1
	v_cmp_ge_f32_e64 s[0:1], 0, v10
	v_add_u32_e32 v10, 1, v5
	v_cndmask_b32_e64 v8, v5, v8, s[0:1]
	v_fma_f32 v5, -v10, v5, v1
	v_cmp_lt_f32_e64 s[0:1], 0, v5
	v_cndmask_b32_e64 v5, v8, v10, s[0:1]
	v_mul_f32_e32 v8, 0x37800000, v5
	v_cndmask_b32_e32 v5, v5, v8, vcc
	v_mov_b32_e32 v8, 0x260
	v_cmp_class_f32_e32 vcc, v1, v8
	v_cndmask_b32_e32 v1, v5, v1, vcc
	v_div_scale_f32 v5, s[0:1], v1, v1, v3
	v_div_scale_f32 v8, vcc, v3, v1, v3
	v_rcp_f32_e32 v10, v5
	v_fma_f32 v12, -v5, v10, 1.0
	v_fmac_f32_e32 v10, v12, v10
	v_mul_f32_e32 v12, v8, v10
	v_fma_f32 v13, -v5, v12, v8
	v_fmac_f32_e32 v12, v13, v10
	v_fma_f32 v5, -v5, v12, v8
	v_div_fmas_f32 v5, v5, v10, v12
                                        ; implicit-def: $vgpr8
	v_div_fixup_f32 v5, v5, v1, v3
                                        ; implicit-def: $vgpr1
                                        ; implicit-def: $vgpr3
.LBB19_1324:
	s_andn2_saveexec_b64 s[6:7], s[6:7]
	s_cbranch_execz .LBB19_1326
; %bb.1325:
	s_mov_b32 s0, 0xf800000
	s_mov_b32 s1, 0x4f800000
	v_mul_f32_e64 v5, |v1|, s1
	v_cmp_lt_f32_e64 vcc, |v1|, s0
	v_cndmask_b32_e64 v1, |v1|, v5, vcc
	v_sqrt_f32_e32 v5, v1
	v_add_u32_e32 v10, -1, v5
	v_fma_f32 v12, -v10, v5, v1
	v_cmp_ge_f32_e64 s[0:1], 0, v12
	v_add_u32_e32 v12, 1, v5
	v_cndmask_b32_e64 v10, v5, v10, s[0:1]
	v_fma_f32 v5, -v12, v5, v1
	v_cmp_lt_f32_e64 s[0:1], 0, v5
	v_cndmask_b32_e64 v5, v10, v12, s[0:1]
	v_mul_f32_e32 v10, 0x37800000, v5
	v_cndmask_b32_e32 v5, v5, v10, vcc
	v_mov_b32_e32 v10, 0x260
	v_cmp_class_f32_e32 vcc, v1, v10
	v_cndmask_b32_e32 v1, v5, v1, vcc
	v_mul_f32_e32 v5, -0.5, v8
	v_mul_f32_e32 v3, v3, v5
	v_div_scale_f32 v5, s[0:1], v1, v1, v3
	v_div_scale_f32 v8, vcc, v3, v1, v3
	v_rcp_f32_e32 v10, v5
	v_fma_f32 v12, -v5, v10, 1.0
	v_fmac_f32_e32 v10, v12, v10
	v_mul_f32_e32 v12, v8, v10
	v_fma_f32 v13, -v5, v12, v8
	v_fmac_f32_e32 v12, v13, v10
	v_fma_f32 v5, -v5, v12, v8
	v_div_fmas_f32 v5, v5, v10, v12
	v_div_fixup_f32 v5, v5, v1, v3
.LBB19_1326:
	s_or_b64 exec, exec, s[6:7]
.LBB19_1327:
	s_or_b64 exec, exec, s[4:5]
	s_lshr_b32 s0, s16, 16
	v_mov_b32_e32 v1, s11
	s_and_b32 s17, s0, 0xff
	v_add_co_u32_e32 v10, vcc, s10, v11
	s_cmp_lt_i32 s17, 11
	v_addc_co_u32_e32 v11, vcc, 0, v1, vcc
	s_cbranch_scc1 .LBB19_1334
; %bb.1328:
	s_and_b32 s18, 0xffff, s17
	s_cmp_gt_i32 s18, 25
	s_mov_b64 s[4:5], 0
	s_cbranch_scc0 .LBB19_1336
; %bb.1329:
	s_cmp_gt_i32 s18, 28
	s_cbranch_scc0 .LBB19_1337
; %bb.1330:
	s_cmp_gt_i32 s18, 43
	;; [unrolled: 3-line block ×3, first 2 shown]
	s_cbranch_scc0 .LBB19_1340
; %bb.1332:
	s_cmp_eq_u32 s18, 46
	s_mov_b64 s[12:13], 0
	s_cbranch_scc0 .LBB19_1343
; %bb.1333:
	global_load_dword v1, v[10:11], off
	s_mov_b64 s[0:1], 0
	s_mov_b64 s[6:7], -1
	s_waitcnt vmcnt(0)
	v_lshlrev_b32_e32 v1, 16, v1
	s_branch .LBB19_1344
.LBB19_1334:
	s_mov_b64 s[6:7], 0
                                        ; implicit-def: $vgpr1
	s_cbranch_execnz .LBB19_1409
.LBB19_1335:
	s_andn2_b64 vcc, exec, s[6:7]
	s_cbranch_vccnz .LBB19_1829
	s_branch .LBB19_1456
.LBB19_1336:
	s_mov_b64 s[6:7], 0
	s_mov_b64 s[0:1], 0
                                        ; implicit-def: $vgpr1
	s_cbranch_execnz .LBB19_1373
	s_branch .LBB19_1405
.LBB19_1337:
	s_mov_b64 s[12:13], -1
	s_mov_b64 s[6:7], 0
	s_mov_b64 s[0:1], 0
                                        ; implicit-def: $vgpr1
	s_branch .LBB19_1354
.LBB19_1338:
	s_mov_b64 s[12:13], -1
	s_mov_b64 s[6:7], 0
	s_mov_b64 s[0:1], 0
                                        ; implicit-def: $vgpr1
	s_branch .LBB19_1349
.LBB19_1339:
	s_or_b64 s[2:3], s[28:29], exec
	s_trap 2
	s_cbranch_execz .LBB19_1268
	s_branch .LBB19_1269
.LBB19_1340:
	s_mov_b64 s[12:13], -1
	s_mov_b64 s[6:7], 0
	s_mov_b64 s[0:1], 0
                                        ; implicit-def: $vgpr1
	s_branch .LBB19_1344
.LBB19_1341:
	s_andn2_saveexec_b64 s[16:17], s[16:17]
	s_cbranch_execz .LBB19_1059
.LBB19_1342:
	s_mov_b32 s20, 0x42800000
	v_add_f32_e64 v0, |v1|, s20
	v_and_b32_e32 v0, 0xff, v0
	v_cmp_ne_u32_e32 vcc, 0, v0
	s_andn2_b64 s[14:15], s[14:15], exec
	s_and_b64 s[20:21], vcc, exec
	s_or_b64 s[14:15], s[14:15], s[20:21]
	s_or_b64 exec, exec, s[16:17]
	v_mov_b32_e32 v2, 0
	s_and_saveexec_b64 s[16:17], s[14:15]
	s_cbranch_execnz .LBB19_1060
	s_branch .LBB19_1061
.LBB19_1343:
	s_mov_b64 s[0:1], -1
                                        ; implicit-def: $vgpr1
	s_mov_b64 s[6:7], 0
.LBB19_1344:
	s_and_b64 vcc, exec, s[12:13]
	s_cbranch_vccz .LBB19_1348
; %bb.1345:
	s_cmp_eq_u32 s18, 44
	s_cbranch_scc0 .LBB19_1347
; %bb.1346:
	global_load_ubyte v1, v[10:11], off
	s_movk_i32 s6, 0xff
	v_mov_b32_e32 v3, 0x7f800001
	v_mov_b32_e32 v8, 0x400000
	s_mov_b64 s[0:1], 0
	s_waitcnt vmcnt(0)
	v_lshlrev_b32_e32 v12, 23, v1
	v_cmp_ne_u32_e32 vcc, s6, v1
	v_cndmask_b32_e32 v3, v3, v12, vcc
	v_cmp_ne_u32_e32 vcc, 0, v1
	v_cndmask_b32_e32 v1, v8, v3, vcc
	s_mov_b64 s[6:7], -1
	s_branch .LBB19_1348
.LBB19_1347:
	s_mov_b64 s[0:1], -1
                                        ; implicit-def: $vgpr1
.LBB19_1348:
	s_mov_b64 s[12:13], 0
.LBB19_1349:
	s_and_b64 vcc, exec, s[12:13]
	s_cbranch_vccz .LBB19_1353
; %bb.1350:
	s_cmp_eq_u32 s18, 29
	s_cbranch_scc0 .LBB19_1352
; %bb.1351:
	global_load_dwordx2 v[12:13], v[10:11], off
	s_mov_b64 s[0:1], 0
	s_mov_b64 s[6:7], -1
	s_mov_b64 s[12:13], 0
	s_waitcnt vmcnt(0)
	v_ffbh_u32_e32 v1, v13
	v_min_u32_e32 v1, 32, v1
	v_lshlrev_b64 v[12:13], v1, v[12:13]
	v_sub_u32_e32 v1, 32, v1
	v_min_u32_e32 v3, 1, v12
	v_or_b32_e32 v3, v13, v3
	v_cvt_f32_u32_e32 v3, v3
	v_ldexp_f32 v1, v3, v1
	s_branch .LBB19_1354
.LBB19_1352:
	s_mov_b64 s[0:1], -1
                                        ; implicit-def: $vgpr1
.LBB19_1353:
	s_mov_b64 s[12:13], 0
.LBB19_1354:
	s_and_b64 vcc, exec, s[12:13]
	s_cbranch_vccz .LBB19_1372
; %bb.1355:
	s_cmp_lt_i32 s18, 27
	s_cbranch_scc1 .LBB19_1358
; %bb.1356:
	s_cmp_gt_i32 s18, 27
	s_cbranch_scc0 .LBB19_1359
; %bb.1357:
	global_load_dword v1, v[10:11], off
	s_mov_b64 s[6:7], 0
	s_waitcnt vmcnt(0)
	v_cvt_f32_u32_e32 v1, v1
	s_branch .LBB19_1360
.LBB19_1358:
	s_mov_b64 s[6:7], -1
                                        ; implicit-def: $vgpr1
	s_branch .LBB19_1363
.LBB19_1359:
	s_mov_b64 s[6:7], -1
                                        ; implicit-def: $vgpr1
.LBB19_1360:
	s_andn2_b64 vcc, exec, s[6:7]
	s_cbranch_vccnz .LBB19_1362
; %bb.1361:
	global_load_ushort v1, v[10:11], off
	s_waitcnt vmcnt(0)
	v_cvt_f32_u32_e32 v1, v1
.LBB19_1362:
	s_mov_b64 s[6:7], 0
.LBB19_1363:
	s_andn2_b64 vcc, exec, s[6:7]
	s_cbranch_vccnz .LBB19_1371
; %bb.1364:
	global_load_ubyte v3, v[10:11], off
	s_movk_i32 s6, 0x7f
	s_waitcnt vmcnt(0)
	v_cmp_lt_i16_e32 vcc, s6, v3
	s_mov_b64 s[6:7], 0
	s_and_saveexec_b64 s[12:13], vcc
	s_xor_b64 s[12:13], exec, s[12:13]
	s_cbranch_execz .LBB19_1384
; %bb.1365:
	s_movk_i32 s6, 0x80
	v_cmp_eq_u16_e32 vcc, s6, v3
	s_mov_b64 s[6:7], -1
	s_and_saveexec_b64 s[14:15], vcc
; %bb.1366:
	s_xor_b64 s[6:7], exec, -1
; %bb.1367:
	s_or_b64 exec, exec, s[14:15]
	s_and_b64 s[6:7], s[6:7], exec
	s_or_saveexec_b64 s[12:13], s[12:13]
	v_mov_b32_e32 v1, 0x7f800001
	s_xor_b64 exec, exec, s[12:13]
	s_cbranch_execnz .LBB19_1385
.LBB19_1368:
	s_or_b64 exec, exec, s[12:13]
	s_and_saveexec_b64 s[12:13], s[6:7]
	s_cbranch_execz .LBB19_1370
.LBB19_1369:
	v_lshlrev_b32_e32 v1, 24, v3
	v_and_b32_e32 v3, 0xffff, v3
	v_and_b32_e32 v8, 7, v3
	v_ffbh_u32_e32 v13, v8
	v_min_u32_e32 v13, 32, v13
	v_subrev_u32_e32 v14, 28, v13
	v_bfe_u32 v12, v3, 3, 4
	v_lshlrev_b32_e32 v3, v14, v3
	v_sub_u32_e32 v13, 29, v13
	v_and_b32_e32 v3, 7, v3
	v_cmp_eq_u32_e32 vcc, 0, v12
	v_cndmask_b32_e32 v12, v12, v13, vcc
	v_cndmask_b32_e32 v3, v8, v3, vcc
	v_mov_b32_e32 v8, 0x3b800000
	v_lshlrev_b32_e32 v3, 20, v3
	v_and_b32_e32 v1, 0x80000000, v1
	v_lshl_add_u32 v8, v12, 23, v8
	v_or3_b32 v1, v1, v8, v3
.LBB19_1370:
	s_or_b64 exec, exec, s[12:13]
.LBB19_1371:
	s_mov_b64 s[6:7], -1
.LBB19_1372:
	s_branch .LBB19_1405
.LBB19_1373:
	s_cmp_gt_i32 s18, 22
	s_cbranch_scc0 .LBB19_1383
; %bb.1374:
	s_cmp_lt_i32 s18, 24
	s_cbranch_scc1 .LBB19_1386
; %bb.1375:
	s_cmp_gt_i32 s18, 24
	s_cbranch_scc0 .LBB19_1387
; %bb.1376:
	global_load_ubyte v3, v[10:11], off
	s_movk_i32 s4, 0x7f
	s_waitcnt vmcnt(0)
	v_cmp_lt_i16_e32 vcc, s4, v3
	s_mov_b64 s[4:5], 0
	s_and_saveexec_b64 s[6:7], vcc
	s_xor_b64 s[6:7], exec, s[6:7]
	s_cbranch_execz .LBB19_1399
; %bb.1377:
	s_movk_i32 s4, 0x80
	v_cmp_eq_u16_e32 vcc, s4, v3
	s_mov_b64 s[4:5], -1
	s_and_saveexec_b64 s[12:13], vcc
; %bb.1378:
	s_xor_b64 s[4:5], exec, -1
; %bb.1379:
	s_or_b64 exec, exec, s[12:13]
	s_and_b64 s[4:5], s[4:5], exec
	s_or_saveexec_b64 s[6:7], s[6:7]
	v_mov_b32_e32 v1, 0x7f800001
	s_xor_b64 exec, exec, s[6:7]
	s_cbranch_execnz .LBB19_1400
.LBB19_1380:
	s_or_b64 exec, exec, s[6:7]
	s_and_saveexec_b64 s[6:7], s[4:5]
	s_cbranch_execz .LBB19_1382
.LBB19_1381:
	v_lshlrev_b32_e32 v1, 24, v3
	v_and_b32_e32 v3, 0xffff, v3
	v_and_b32_e32 v8, 3, v3
	v_ffbh_u32_e32 v13, v8
	v_min_u32_e32 v13, 32, v13
	v_subrev_u32_e32 v14, 29, v13
	v_bfe_u32 v12, v3, 2, 5
	v_lshlrev_b32_e32 v3, v14, v3
	v_sub_u32_e32 v13, 30, v13
	v_and_b32_e32 v3, 3, v3
	v_cmp_eq_u32_e32 vcc, 0, v12
	v_cndmask_b32_e32 v12, v12, v13, vcc
	v_cndmask_b32_e32 v3, v8, v3, vcc
	v_mov_b32_e32 v8, 0x37800000
	v_lshlrev_b32_e32 v3, 21, v3
	v_and_b32_e32 v1, 0x80000000, v1
	v_lshl_add_u32 v8, v12, 23, v8
	v_or3_b32 v1, v1, v8, v3
.LBB19_1382:
	s_or_b64 exec, exec, s[6:7]
	s_mov_b64 s[4:5], 0
	s_branch .LBB19_1388
.LBB19_1383:
	s_mov_b64 s[4:5], -1
                                        ; implicit-def: $vgpr1
	s_branch .LBB19_1394
.LBB19_1384:
	s_or_saveexec_b64 s[12:13], s[12:13]
	v_mov_b32_e32 v1, 0x7f800001
	s_xor_b64 exec, exec, s[12:13]
	s_cbranch_execz .LBB19_1368
.LBB19_1385:
	v_cmp_ne_u16_e32 vcc, 0, v3
	s_andn2_b64 s[6:7], s[6:7], exec
	s_and_b64 s[14:15], vcc, exec
	v_mov_b32_e32 v1, 0
	s_or_b64 s[6:7], s[6:7], s[14:15]
	s_or_b64 exec, exec, s[12:13]
	s_and_saveexec_b64 s[12:13], s[6:7]
	s_cbranch_execnz .LBB19_1369
	s_branch .LBB19_1370
.LBB19_1386:
	s_mov_b64 s[4:5], -1
                                        ; implicit-def: $vgpr1
	s_branch .LBB19_1391
.LBB19_1387:
	s_mov_b64 s[4:5], -1
                                        ; implicit-def: $vgpr1
.LBB19_1388:
	s_and_b64 vcc, exec, s[4:5]
	s_cbranch_vccz .LBB19_1390
; %bb.1389:
	global_load_ubyte v1, v[10:11], off
	s_mov_b32 s4, 0x7f800000
	s_waitcnt vmcnt(0)
	v_lshlrev_b32_e32 v1, 24, v1
	v_and_b32_e32 v3, 0x7f000000, v1
	v_ffbh_u32_e32 v8, v3
	v_min_u32_e32 v8, 32, v8
	v_sub_u32_e64 v8, v8, 4 clamp
	v_lshlrev_b32_e32 v13, v8, v3
	v_lshlrev_b32_e32 v8, 23, v8
	v_lshrrev_b32_e32 v13, 4, v13
	v_add_u32_e32 v12, 0x1000000, v3
	v_sub_u32_e32 v8, v13, v8
	v_ashrrev_i32_e32 v12, 8, v12
	v_add_u32_e32 v8, 0x3c000000, v8
	v_and_or_b32 v8, v12, s4, v8
	v_cmp_ne_u32_e32 vcc, 0, v3
	v_cndmask_b32_e32 v3, 0, v8, vcc
	s_brev_b32 s4, 1
	v_and_or_b32 v1, v1, s4, v3
.LBB19_1390:
	s_mov_b64 s[4:5], 0
.LBB19_1391:
	s_andn2_b64 vcc, exec, s[4:5]
	s_cbranch_vccnz .LBB19_1393
; %bb.1392:
	global_load_ubyte v1, v[10:11], off
	s_movk_i32 s4, 0x7f00
	s_brev_b32 s5, 16
	s_waitcnt vmcnt(0)
	v_lshlrev_b16_e32 v3, 8, v1
	v_lshlrev_b32_e32 v1, 25, v1
	v_lshrrev_b32_e32 v8, 4, v1
	v_and_or_b32 v12, v3, s4, 0.5
	v_or_b32_e32 v8, 0x70000000, v8
	v_add_f32_e32 v12, -0.5, v12
	v_mul_f32_e32 v8, 0x7800000, v8
	v_cmp_gt_u32_e32 vcc, s5, v1
	v_bfe_i32 v3, v3, 0, 16
	v_cndmask_b32_e32 v1, v8, v12, vcc
	s_brev_b32 s4, 1
	v_and_or_b32 v1, v3, s4, v1
.LBB19_1393:
	s_mov_b64 s[4:5], 0
	s_mov_b64 s[6:7], -1
.LBB19_1394:
	s_andn2_b64 vcc, exec, s[4:5]
	s_mov_b64 s[4:5], 0
	s_cbranch_vccnz .LBB19_1405
; %bb.1395:
	s_cmp_gt_i32 s18, 14
	s_cbranch_scc0 .LBB19_1398
; %bb.1396:
	s_cmp_eq_u32 s18, 15
	s_cbranch_scc0 .LBB19_1401
; %bb.1397:
	global_load_ushort v1, v[10:11], off
	s_mov_b64 s[0:1], 0
	s_mov_b64 s[6:7], -1
	s_waitcnt vmcnt(0)
	v_lshlrev_b32_e32 v1, 16, v1
	s_branch .LBB19_1402
.LBB19_1398:
	s_mov_b64 s[12:13], -1
                                        ; implicit-def: $vgpr1
	s_branch .LBB19_1403
.LBB19_1399:
	s_or_saveexec_b64 s[6:7], s[6:7]
	v_mov_b32_e32 v1, 0x7f800001
	s_xor_b64 exec, exec, s[6:7]
	s_cbranch_execz .LBB19_1380
.LBB19_1400:
	v_cmp_ne_u16_e32 vcc, 0, v3
	s_andn2_b64 s[4:5], s[4:5], exec
	s_and_b64 s[12:13], vcc, exec
	v_mov_b32_e32 v1, 0
	s_or_b64 s[4:5], s[4:5], s[12:13]
	s_or_b64 exec, exec, s[6:7]
	s_and_saveexec_b64 s[6:7], s[4:5]
	s_cbranch_execnz .LBB19_1381
	s_branch .LBB19_1382
.LBB19_1401:
	s_mov_b64 s[0:1], -1
                                        ; implicit-def: $vgpr1
.LBB19_1402:
	s_mov_b64 s[12:13], 0
.LBB19_1403:
	s_and_b64 vcc, exec, s[12:13]
	s_cbranch_vccz .LBB19_1405
; %bb.1404:
	s_cmp_lg_u32 s18, 11
	s_mov_b64 s[4:5], -1
	s_cselect_b64 s[0:1], -1, 0
.LBB19_1405:
	s_and_b64 vcc, exec, s[0:1]
	s_cbranch_vccnz .LBB19_1480
; %bb.1406:
	s_andn2_b64 vcc, exec, s[4:5]
	s_cbranch_vccnz .LBB19_1408
.LBB19_1407:
	global_load_ubyte v1, v[10:11], off
	s_mov_b64 s[6:7], -1
	s_waitcnt vmcnt(0)
	v_cmp_ne_u16_e32 vcc, 0, v1
	v_cndmask_b32_e64 v1, 0, 1.0, vcc
.LBB19_1408:
	s_branch .LBB19_1335
.LBB19_1409:
	s_and_b32 s4, 0xffff, s17
	s_cmp_lt_i32 s4, 5
	s_cbranch_scc1 .LBB19_1414
; %bb.1410:
	s_cmp_lt_i32 s4, 8
	s_cbranch_scc1 .LBB19_1415
; %bb.1411:
	;; [unrolled: 3-line block ×3, first 2 shown]
	s_cmp_gt_i32 s4, 9
	s_cbranch_scc0 .LBB19_1417
; %bb.1413:
	global_load_dwordx2 v[12:13], v[10:11], off
	s_mov_b64 s[0:1], 0
	s_waitcnt vmcnt(0)
	v_cvt_f32_f64_e32 v1, v[12:13]
	s_branch .LBB19_1418
.LBB19_1414:
                                        ; implicit-def: $vgpr1
	s_branch .LBB19_1436
.LBB19_1415:
	s_mov_b64 s[0:1], -1
                                        ; implicit-def: $vgpr1
	s_branch .LBB19_1424
.LBB19_1416:
	s_mov_b64 s[0:1], -1
                                        ; implicit-def: $vgpr1
	s_branch .LBB19_1421
.LBB19_1417:
	s_mov_b64 s[0:1], -1
                                        ; implicit-def: $vgpr1
.LBB19_1418:
	s_andn2_b64 vcc, exec, s[0:1]
	s_cbranch_vccnz .LBB19_1420
; %bb.1419:
	global_load_dword v1, v[10:11], off
.LBB19_1420:
	s_mov_b64 s[0:1], 0
.LBB19_1421:
	s_andn2_b64 vcc, exec, s[0:1]
	s_cbranch_vccnz .LBB19_1423
; %bb.1422:
	global_load_dword v1, v[10:11], off
	s_waitcnt vmcnt(0)
	v_cvt_f32_f16_e32 v1, v1
.LBB19_1423:
	s_mov_b64 s[0:1], 0
.LBB19_1424:
	s_andn2_b64 vcc, exec, s[0:1]
	s_cbranch_vccnz .LBB19_1435
; %bb.1425:
	s_cmp_lt_i32 s4, 6
	s_cbranch_scc1 .LBB19_1428
; %bb.1426:
	s_cmp_gt_i32 s4, 6
	s_cbranch_scc0 .LBB19_1429
; %bb.1427:
	global_load_dwordx2 v[12:13], v[10:11], off
	s_mov_b64 s[0:1], 0
	s_waitcnt vmcnt(0)
	v_cvt_f32_f64_e32 v1, v[12:13]
	s_branch .LBB19_1430
.LBB19_1428:
	s_mov_b64 s[0:1], -1
                                        ; implicit-def: $vgpr1
	s_branch .LBB19_1433
.LBB19_1429:
	s_mov_b64 s[0:1], -1
                                        ; implicit-def: $vgpr1
.LBB19_1430:
	s_andn2_b64 vcc, exec, s[0:1]
	s_cbranch_vccnz .LBB19_1432
; %bb.1431:
	global_load_dword v1, v[10:11], off
.LBB19_1432:
	s_mov_b64 s[0:1], 0
.LBB19_1433:
	s_andn2_b64 vcc, exec, s[0:1]
	s_cbranch_vccnz .LBB19_1435
; %bb.1434:
	global_load_ushort v1, v[10:11], off
	s_waitcnt vmcnt(0)
	v_cvt_f32_f16_e32 v1, v1
.LBB19_1435:
	s_cbranch_execnz .LBB19_1455
.LBB19_1436:
	s_cmp_lt_i32 s4, 2
	s_cbranch_scc1 .LBB19_1440
; %bb.1437:
	s_cmp_lt_i32 s4, 3
	s_cbranch_scc1 .LBB19_1441
; %bb.1438:
	s_cmp_gt_i32 s4, 3
	s_cbranch_scc0 .LBB19_1442
; %bb.1439:
	global_load_dwordx2 v[12:13], v[10:11], off
	s_mov_b64 s[0:1], 0
	s_waitcnt vmcnt(0)
	v_xor_b32_e32 v3, v12, v13
	v_ffbh_i32_e32 v1, v13
	v_ashrrev_i32_e32 v3, 31, v3
	v_add_u32_e32 v1, -1, v1
	v_add_u32_e32 v3, 32, v3
	v_min_u32_e32 v1, v1, v3
	v_lshlrev_b64 v[12:13], v1, v[12:13]
	v_sub_u32_e32 v1, 32, v1
	v_min_u32_e32 v3, 1, v12
	v_or_b32_e32 v3, v13, v3
	v_cvt_f32_i32_e32 v3, v3
	v_ldexp_f32 v1, v3, v1
	s_branch .LBB19_1443
.LBB19_1440:
	s_mov_b64 s[0:1], -1
                                        ; implicit-def: $vgpr1
	s_branch .LBB19_1449
.LBB19_1441:
	s_mov_b64 s[0:1], -1
                                        ; implicit-def: $vgpr1
	s_branch .LBB19_1446
.LBB19_1442:
	s_mov_b64 s[0:1], -1
                                        ; implicit-def: $vgpr1
.LBB19_1443:
	s_andn2_b64 vcc, exec, s[0:1]
	s_cbranch_vccnz .LBB19_1445
; %bb.1444:
	global_load_dword v1, v[10:11], off
	s_waitcnt vmcnt(0)
	v_cvt_f32_i32_e32 v1, v1
.LBB19_1445:
	s_mov_b64 s[0:1], 0
.LBB19_1446:
	s_andn2_b64 vcc, exec, s[0:1]
	s_cbranch_vccnz .LBB19_1448
; %bb.1447:
	global_load_sshort v1, v[10:11], off
	s_waitcnt vmcnt(0)
	v_cvt_f32_i32_e32 v1, v1
.LBB19_1448:
	s_mov_b64 s[0:1], 0
.LBB19_1449:
	s_andn2_b64 vcc, exec, s[0:1]
	s_cbranch_vccnz .LBB19_1455
; %bb.1450:
	s_cmp_gt_i32 s4, 0
	s_cbranch_scc0 .LBB19_1452
; %bb.1451:
	global_load_sbyte v1, v[10:11], off
	s_mov_b64 s[0:1], 0
	s_waitcnt vmcnt(0)
	v_cvt_f32_i32_e32 v1, v1
	s_branch .LBB19_1453
.LBB19_1452:
	s_mov_b64 s[0:1], -1
                                        ; implicit-def: $vgpr1
.LBB19_1453:
	s_andn2_b64 vcc, exec, s[0:1]
	s_cbranch_vccnz .LBB19_1455
; %bb.1454:
	global_load_ubyte v1, v[10:11], off
	s_waitcnt vmcnt(0)
	v_cvt_f32_ubyte0_e32 v1, v1
.LBB19_1455:
.LBB19_1456:
	s_mov_b32 s0, 0x41000000
	s_waitcnt vmcnt(0)
	v_cmp_le_f32_e64 s[0:1], |v1|, s0
                                        ; implicit-def: $vgpr3
	s_and_saveexec_b64 s[4:5], s[0:1]
	s_xor_b64 s[4:5], exec, s[4:5]
	s_cbranch_execz .LBB19_1462
; %bb.1457:
	v_fma_f32 v3, |v1|, 0.5, -2.0
	v_mov_b32_e32 v8, 0xa3c2be86
	v_fmac_f32_e32 v8, 0x224cf950, v3
	v_mov_b32_e32 v10, 0xa24cf950
	v_fmac_f32_e32 v10, v3, v8
	v_add_f32_e32 v10, 0x25331f1f, v10
	v_fma_f32 v8, v3, v10, -v8
	v_add_f32_e32 v8, 0xa69f5554, v8
	v_fma_f32 v10, v3, v8, -v10
	;; [unrolled: 2-line block ×25, first 2 shown]
	v_add_f32_e32 v8, 0xbe34a688, v8
	s_mov_b32 s0, 0x3fb8aa3b
	v_fma_f32 v3, v3, v8, -v10
	v_mul_f32_e64 v8, |v1|, s0
	v_rndne_f32_e32 v11, v8
	v_sub_f32_e32 v12, v8, v11
	v_fma_f32 v8, |v1|, s0, -v8
	s_mov_b32 s0, 0x32a5705f
	v_fma_f32 v8, |v1|, s0, v8
	v_add_f32_e32 v8, v12, v8
	v_exp_f32_e32 v12, v8
	v_cvt_i32_f32_e32 v11, v11
	v_add_f32_e32 v3, 0x3e81531c, v3
	v_sub_f32_e32 v3, v3, v10
	v_mul_f32_e32 v3, 0.5, v3
	s_mov_b32 s0, 0xc2ce8ed0
	v_mul_f32_e64 v8, |v1|, v3
	v_ldexp_f32 v3, v12, v11
	v_cmp_nlt_f32_e64 s[0:1], |v1|, s0
	v_cndmask_b32_e64 v3, 0, v3, s[0:1]
	s_mov_b32 s0, 0x42b17218
	v_mov_b32_e32 v10, 0x7f800000
	v_cmp_ngt_f32_e64 s[0:1], |v1|, s0
	v_cmp_ngt_f32_e32 vcc, 0, v1
	v_cndmask_b32_e64 v1, v10, v3, s[0:1]
                                        ; implicit-def: $vgpr3
	s_and_saveexec_b64 s[0:1], vcc
	s_xor_b64 s[0:1], exec, s[0:1]
; %bb.1458:
	v_mul_f32_e32 v3, v1, v8
                                        ; implicit-def: $vgpr1
                                        ; implicit-def: $vgpr8
; %bb.1459:
	s_andn2_saveexec_b64 s[0:1], s[0:1]
; %bb.1460:
	v_mul_f32_e64 v3, v8, -v1
; %bb.1461:
	s_or_b64 exec, exec, s[0:1]
                                        ; implicit-def: $vgpr1
.LBB19_1462:
	s_andn2_saveexec_b64 s[4:5], s[4:5]
	s_cbranch_execz .LBB19_1468
; %bb.1463:
	v_and_b32_e32 v3, 0x7fffffff, v1
	s_mov_b32 s6, 0x42000000
	v_div_scale_f32 v8, s[0:1], v3, v3, s6
	v_div_scale_f32 v3, vcc, s6, v3, s6
	s_mov_b32 s7, 0x3fb8aa3b
	s_mov_b32 s12, 0x32a5705f
	v_mov_b32_e32 v10, 0x22a2dc57
	v_mov_b32_e32 v12, 0xa30aab6e
	v_cmp_ngt_f32_e64 s[0:1], 0, v1
	v_rcp_f32_e32 v11, v8
	v_fma_f32 v13, -v8, v11, 1.0
	v_fmac_f32_e32 v11, v13, v11
	v_mul_f32_e32 v13, v3, v11
	v_fma_f32 v14, -v8, v13, v3
	v_fmac_f32_e32 v13, v14, v11
	v_fma_f32 v3, -v8, v13, v3
	v_div_fmas_f32 v3, v3, v11, v13
	v_mul_f32_e64 v8, |v1|, s7
	v_rndne_f32_e32 v11, v8
	v_fma_f32 v13, |v1|, s7, -v8
	v_sub_f32_e32 v8, v8, v11
	v_fma_f32 v13, |v1|, s12, v13
	v_add_f32_e32 v8, v8, v13
	v_cvt_i32_f32_e32 v11, v11
	v_exp_f32_e32 v8, v8
	s_mov_b32 s7, 0xc2ce8ed0
	s_mov_b32 s12, 0x42b17218
	v_cmp_nlt_f32_e64 vcc, |v1|, s7
	v_ldexp_f32 v8, v8, v11
	v_mov_b32_e32 v13, 0x7f800000
	v_cndmask_b32_e32 v8, 0, v8, vcc
	v_cmp_ngt_f32_e64 vcc, |v1|, s12
	v_div_fixup_f32 v3, v3, |v1|, s6
	v_add_f32_e32 v3, -2.0, v3
	v_fmac_f32_e32 v10, 0x230aab6e, v3
	v_fmac_f32_e32 v12, v3, v10
	v_add_f32_e32 v11, 0xa456751e, v12
	v_fma_f32 v10, v3, v11, -v10
	v_add_f32_e32 v10, 0xa4140365, v10
	v_fma_f32 v11, v3, v10, -v11
	;; [unrolled: 2-line block ×22, first 2 shown]
	v_add_f32_e32 v3, 0x3f4750c6, v3
	v_cndmask_b32_e32 v8, v13, v8, vcc
	v_sub_f32_e32 v10, v3, v11
                                        ; implicit-def: $vgpr3
	s_and_saveexec_b64 s[6:7], s[0:1]
	s_xor_b64 s[6:7], exec, s[6:7]
	s_cbranch_execz .LBB19_1465
; %bb.1464:
	s_mov_b32 s0, 0xf800000
	s_mov_b32 s1, 0x4f800000
	v_mul_f32_e64 v3, |v1|, s1
	v_cmp_lt_f32_e64 vcc, |v1|, s0
	v_cndmask_b32_e64 v1, |v1|, v3, vcc
	v_sqrt_f32_e32 v3, v1
	v_mul_f32_e32 v10, 0.5, v10
	v_mul_f32_e32 v8, v8, v10
	v_add_u32_e32 v10, -1, v3
	v_fma_f32 v11, -v10, v3, v1
	v_cmp_ge_f32_e64 s[0:1], 0, v11
	v_add_u32_e32 v11, 1, v3
	v_cndmask_b32_e64 v10, v3, v10, s[0:1]
	v_fma_f32 v3, -v11, v3, v1
	v_cmp_lt_f32_e64 s[0:1], 0, v3
	v_cndmask_b32_e64 v3, v10, v11, s[0:1]
	v_mul_f32_e32 v10, 0x37800000, v3
	v_cndmask_b32_e32 v3, v3, v10, vcc
	v_mov_b32_e32 v10, 0x260
	v_cmp_class_f32_e32 vcc, v1, v10
	v_cndmask_b32_e32 v1, v3, v1, vcc
	v_div_scale_f32 v3, s[0:1], v1, v1, v8
	v_div_scale_f32 v10, vcc, v8, v1, v8
	v_rcp_f32_e32 v11, v3
	v_fma_f32 v12, -v3, v11, 1.0
	v_fmac_f32_e32 v11, v12, v11
	v_mul_f32_e32 v12, v10, v11
	v_fma_f32 v13, -v3, v12, v10
	v_fmac_f32_e32 v12, v13, v11
	v_fma_f32 v3, -v3, v12, v10
	v_div_fmas_f32 v3, v3, v11, v12
                                        ; implicit-def: $vgpr10
	v_div_fixup_f32 v3, v3, v1, v8
                                        ; implicit-def: $vgpr1
                                        ; implicit-def: $vgpr8
.LBB19_1465:
	s_andn2_saveexec_b64 s[6:7], s[6:7]
	s_cbranch_execz .LBB19_1467
; %bb.1466:
	s_mov_b32 s0, 0xf800000
	s_mov_b32 s1, 0x4f800000
	v_mul_f32_e64 v3, |v1|, s1
	v_cmp_lt_f32_e64 vcc, |v1|, s0
	v_cndmask_b32_e64 v1, |v1|, v3, vcc
	v_sqrt_f32_e32 v3, v1
	v_add_u32_e32 v11, -1, v3
	v_fma_f32 v12, -v11, v3, v1
	v_cmp_ge_f32_e64 s[0:1], 0, v12
	v_add_u32_e32 v12, 1, v3
	v_cndmask_b32_e64 v11, v3, v11, s[0:1]
	v_fma_f32 v3, -v12, v3, v1
	v_cmp_lt_f32_e64 s[0:1], 0, v3
	v_cndmask_b32_e64 v3, v11, v12, s[0:1]
	v_mul_f32_e32 v11, 0x37800000, v3
	v_cndmask_b32_e32 v3, v3, v11, vcc
	v_mov_b32_e32 v11, 0x260
	v_cmp_class_f32_e32 vcc, v1, v11
	v_cndmask_b32_e32 v1, v3, v1, vcc
	v_mul_f32_e32 v3, -0.5, v10
	v_mul_f32_e32 v3, v8, v3
	v_div_scale_f32 v8, s[0:1], v1, v1, v3
	v_div_scale_f32 v10, vcc, v3, v1, v3
	v_rcp_f32_e32 v11, v8
	v_fma_f32 v12, -v8, v11, 1.0
	v_fmac_f32_e32 v11, v12, v11
	v_mul_f32_e32 v12, v10, v11
	v_fma_f32 v13, -v8, v12, v10
	v_fmac_f32_e32 v12, v13, v11
	v_fma_f32 v8, -v8, v12, v10
	v_div_fmas_f32 v8, v8, v11, v12
	v_div_fixup_f32 v3, v8, v1, v3
.LBB19_1467:
	s_or_b64 exec, exec, s[6:7]
.LBB19_1468:
	s_or_b64 exec, exec, s[4:5]
	v_mov_b32_e32 v1, s11
	v_add_co_u32_e32 v8, vcc, s10, v9
	s_cmp_lt_i32 s17, 11
	v_addc_co_u32_e32 v9, vcc, 0, v1, vcc
	s_cbranch_scc1 .LBB19_1475
; %bb.1469:
	s_and_b32 s18, 0xffff, s17
	s_cmp_gt_i32 s18, 25
	s_mov_b64 s[4:5], 0
	s_cbranch_scc0 .LBB19_1477
; %bb.1470:
	s_cmp_gt_i32 s18, 28
	s_cbranch_scc0 .LBB19_1478
; %bb.1471:
	s_cmp_gt_i32 s18, 43
	;; [unrolled: 3-line block ×3, first 2 shown]
	s_cbranch_scc0 .LBB19_1481
; %bb.1473:
	s_cmp_eq_u32 s18, 46
	s_mov_b64 s[12:13], 0
	s_cbranch_scc0 .LBB19_1482
; %bb.1474:
	global_load_dword v1, v[8:9], off
	s_mov_b64 s[0:1], 0
	s_mov_b64 s[6:7], -1
	s_waitcnt vmcnt(0)
	v_lshlrev_b32_e32 v10, 16, v1
	s_branch .LBB19_1483
.LBB19_1475:
	s_mov_b64 s[6:7], 0
                                        ; implicit-def: $vgpr10
	s_cbranch_execnz .LBB19_1549
.LBB19_1476:
	s_andn2_b64 vcc, exec, s[6:7]
	s_cbranch_vccnz .LBB19_1829
	s_branch .LBB19_1597
.LBB19_1477:
	s_mov_b64 s[12:13], -1
	s_mov_b64 s[6:7], 0
	s_mov_b64 s[0:1], 0
                                        ; implicit-def: $vgpr10
	s_branch .LBB19_1512
.LBB19_1478:
	s_mov_b64 s[12:13], -1
	s_mov_b64 s[6:7], 0
	s_mov_b64 s[0:1], 0
                                        ; implicit-def: $vgpr10
	s_branch .LBB19_1493
.LBB19_1479:
	s_mov_b64 s[12:13], -1
	s_mov_b64 s[6:7], 0
	s_mov_b64 s[0:1], 0
                                        ; implicit-def: $vgpr10
	s_branch .LBB19_1488
.LBB19_1480:
	s_trap 2
	s_or_b64 s[2:3], s[2:3], exec
	s_cbranch_execz .LBB19_1407
	s_branch .LBB19_1408
.LBB19_1481:
	s_mov_b64 s[12:13], -1
	s_mov_b64 s[6:7], 0
	s_mov_b64 s[0:1], 0
                                        ; implicit-def: $vgpr10
	s_branch .LBB19_1483
.LBB19_1482:
	s_mov_b64 s[0:1], -1
                                        ; implicit-def: $vgpr10
	s_mov_b64 s[6:7], 0
.LBB19_1483:
	s_and_b64 vcc, exec, s[12:13]
	s_cbranch_vccz .LBB19_1487
; %bb.1484:
	s_cmp_eq_u32 s18, 44
	s_cbranch_scc0 .LBB19_1486
; %bb.1485:
	global_load_ubyte v1, v[8:9], off
	s_movk_i32 s6, 0xff
	v_mov_b32_e32 v10, 0x7f800001
	v_mov_b32_e32 v11, 0x400000
	s_mov_b64 s[0:1], 0
	s_waitcnt vmcnt(0)
	v_lshlrev_b32_e32 v12, 23, v1
	v_cmp_ne_u32_e32 vcc, s6, v1
	v_cndmask_b32_e32 v10, v10, v12, vcc
	v_cmp_ne_u32_e32 vcc, 0, v1
	v_cndmask_b32_e32 v10, v11, v10, vcc
	s_mov_b64 s[6:7], -1
	s_branch .LBB19_1487
.LBB19_1486:
	s_mov_b64 s[0:1], -1
                                        ; implicit-def: $vgpr10
.LBB19_1487:
	s_mov_b64 s[12:13], 0
.LBB19_1488:
	s_and_b64 vcc, exec, s[12:13]
	s_cbranch_vccz .LBB19_1492
; %bb.1489:
	s_cmp_eq_u32 s18, 29
	s_cbranch_scc0 .LBB19_1491
; %bb.1490:
	global_load_dwordx2 v[10:11], v[8:9], off
	s_mov_b64 s[0:1], 0
	s_mov_b64 s[6:7], -1
	s_mov_b64 s[12:13], 0
	s_waitcnt vmcnt(0)
	v_ffbh_u32_e32 v1, v11
	v_min_u32_e32 v1, 32, v1
	v_lshlrev_b64 v[10:11], v1, v[10:11]
	v_sub_u32_e32 v1, 32, v1
	v_min_u32_e32 v10, 1, v10
	v_or_b32_e32 v10, v11, v10
	v_cvt_f32_u32_e32 v10, v10
	v_ldexp_f32 v10, v10, v1
	s_branch .LBB19_1493
.LBB19_1491:
	s_mov_b64 s[0:1], -1
                                        ; implicit-def: $vgpr10
.LBB19_1492:
	s_mov_b64 s[12:13], 0
.LBB19_1493:
	s_and_b64 vcc, exec, s[12:13]
	s_cbranch_vccz .LBB19_1511
; %bb.1494:
	s_cmp_lt_i32 s18, 27
	s_cbranch_scc1 .LBB19_1497
; %bb.1495:
	s_cmp_gt_i32 s18, 27
	s_cbranch_scc0 .LBB19_1498
; %bb.1496:
	global_load_dword v1, v[8:9], off
	s_mov_b64 s[6:7], 0
	s_waitcnt vmcnt(0)
	v_cvt_f32_u32_e32 v10, v1
	s_branch .LBB19_1499
.LBB19_1497:
	s_mov_b64 s[6:7], -1
                                        ; implicit-def: $vgpr10
	s_branch .LBB19_1502
.LBB19_1498:
	s_mov_b64 s[6:7], -1
                                        ; implicit-def: $vgpr10
.LBB19_1499:
	s_andn2_b64 vcc, exec, s[6:7]
	s_cbranch_vccnz .LBB19_1501
; %bb.1500:
	global_load_ushort v1, v[8:9], off
	s_waitcnt vmcnt(0)
	v_cvt_f32_u32_e32 v10, v1
.LBB19_1501:
	s_mov_b64 s[6:7], 0
.LBB19_1502:
	s_andn2_b64 vcc, exec, s[6:7]
	s_cbranch_vccnz .LBB19_1510
; %bb.1503:
	global_load_ubyte v1, v[8:9], off
	s_movk_i32 s6, 0x7f
	s_waitcnt vmcnt(0)
	v_cmp_lt_i16_e32 vcc, s6, v1
	s_mov_b64 s[6:7], 0
	s_and_saveexec_b64 s[12:13], vcc
	s_xor_b64 s[12:13], exec, s[12:13]
	s_cbranch_execz .LBB19_1524
; %bb.1504:
	s_movk_i32 s6, 0x80
	v_cmp_eq_u16_e32 vcc, s6, v1
	s_mov_b64 s[6:7], -1
	s_and_saveexec_b64 s[14:15], vcc
; %bb.1505:
	s_xor_b64 s[6:7], exec, -1
; %bb.1506:
	s_or_b64 exec, exec, s[14:15]
	s_and_b64 s[6:7], s[6:7], exec
	s_or_saveexec_b64 s[12:13], s[12:13]
	v_mov_b32_e32 v10, 0x7f800001
	s_xor_b64 exec, exec, s[12:13]
	s_cbranch_execnz .LBB19_1525
.LBB19_1507:
	s_or_b64 exec, exec, s[12:13]
	s_and_saveexec_b64 s[12:13], s[6:7]
	s_cbranch_execz .LBB19_1509
.LBB19_1508:
	v_lshlrev_b32_e32 v10, 24, v1
	v_and_b32_e32 v1, 0xffff, v1
	v_and_b32_e32 v11, 7, v1
	v_ffbh_u32_e32 v13, v11
	v_min_u32_e32 v13, 32, v13
	v_subrev_u32_e32 v14, 28, v13
	v_bfe_u32 v12, v1, 3, 4
	v_lshlrev_b32_e32 v1, v14, v1
	v_sub_u32_e32 v13, 29, v13
	v_and_b32_e32 v1, 7, v1
	v_cmp_eq_u32_e32 vcc, 0, v12
	v_cndmask_b32_e32 v12, v12, v13, vcc
	v_cndmask_b32_e32 v1, v11, v1, vcc
	v_mov_b32_e32 v11, 0x3b800000
	v_lshlrev_b32_e32 v1, 20, v1
	v_and_b32_e32 v10, 0x80000000, v10
	v_lshl_add_u32 v11, v12, 23, v11
	v_or3_b32 v10, v10, v11, v1
.LBB19_1509:
	s_or_b64 exec, exec, s[12:13]
.LBB19_1510:
	s_mov_b64 s[6:7], -1
.LBB19_1511:
	s_mov_b64 s[12:13], 0
.LBB19_1512:
	s_and_b64 vcc, exec, s[12:13]
	s_cbranch_vccz .LBB19_1545
; %bb.1513:
	s_cmp_gt_i32 s18, 22
	s_cbranch_scc0 .LBB19_1523
; %bb.1514:
	s_cmp_lt_i32 s18, 24
	s_cbranch_scc1 .LBB19_1526
; %bb.1515:
	s_cmp_gt_i32 s18, 24
	s_cbranch_scc0 .LBB19_1527
; %bb.1516:
	global_load_ubyte v1, v[8:9], off
	s_movk_i32 s4, 0x7f
	s_waitcnt vmcnt(0)
	v_cmp_lt_i16_e32 vcc, s4, v1
	s_mov_b64 s[4:5], 0
	s_and_saveexec_b64 s[6:7], vcc
	s_xor_b64 s[6:7], exec, s[6:7]
	s_cbranch_execz .LBB19_1539
; %bb.1517:
	s_movk_i32 s4, 0x80
	v_cmp_eq_u16_e32 vcc, s4, v1
	s_mov_b64 s[4:5], -1
	s_and_saveexec_b64 s[12:13], vcc
; %bb.1518:
	s_xor_b64 s[4:5], exec, -1
; %bb.1519:
	s_or_b64 exec, exec, s[12:13]
	s_and_b64 s[4:5], s[4:5], exec
	s_or_saveexec_b64 s[6:7], s[6:7]
	v_mov_b32_e32 v10, 0x7f800001
	s_xor_b64 exec, exec, s[6:7]
	s_cbranch_execnz .LBB19_1540
.LBB19_1520:
	s_or_b64 exec, exec, s[6:7]
	s_and_saveexec_b64 s[6:7], s[4:5]
	s_cbranch_execz .LBB19_1522
.LBB19_1521:
	v_lshlrev_b32_e32 v10, 24, v1
	v_and_b32_e32 v1, 0xffff, v1
	v_and_b32_e32 v11, 3, v1
	v_ffbh_u32_e32 v13, v11
	v_min_u32_e32 v13, 32, v13
	v_subrev_u32_e32 v14, 29, v13
	v_bfe_u32 v12, v1, 2, 5
	v_lshlrev_b32_e32 v1, v14, v1
	v_sub_u32_e32 v13, 30, v13
	v_and_b32_e32 v1, 3, v1
	v_cmp_eq_u32_e32 vcc, 0, v12
	v_cndmask_b32_e32 v12, v12, v13, vcc
	v_cndmask_b32_e32 v1, v11, v1, vcc
	v_mov_b32_e32 v11, 0x37800000
	v_lshlrev_b32_e32 v1, 21, v1
	v_and_b32_e32 v10, 0x80000000, v10
	v_lshl_add_u32 v11, v12, 23, v11
	v_or3_b32 v10, v10, v11, v1
.LBB19_1522:
	s_or_b64 exec, exec, s[6:7]
	s_mov_b64 s[4:5], 0
	s_branch .LBB19_1528
.LBB19_1523:
	s_mov_b64 s[4:5], -1
                                        ; implicit-def: $vgpr10
	s_branch .LBB19_1534
.LBB19_1524:
	s_or_saveexec_b64 s[12:13], s[12:13]
	v_mov_b32_e32 v10, 0x7f800001
	s_xor_b64 exec, exec, s[12:13]
	s_cbranch_execz .LBB19_1507
.LBB19_1525:
	v_cmp_ne_u16_e32 vcc, 0, v1
	s_andn2_b64 s[6:7], s[6:7], exec
	s_and_b64 s[14:15], vcc, exec
	v_mov_b32_e32 v10, 0
	s_or_b64 s[6:7], s[6:7], s[14:15]
	s_or_b64 exec, exec, s[12:13]
	s_and_saveexec_b64 s[12:13], s[6:7]
	s_cbranch_execnz .LBB19_1508
	s_branch .LBB19_1509
.LBB19_1526:
	s_mov_b64 s[4:5], -1
                                        ; implicit-def: $vgpr10
	s_branch .LBB19_1531
.LBB19_1527:
	s_mov_b64 s[4:5], -1
                                        ; implicit-def: $vgpr10
.LBB19_1528:
	s_and_b64 vcc, exec, s[4:5]
	s_cbranch_vccz .LBB19_1530
; %bb.1529:
	global_load_ubyte v1, v[8:9], off
	s_mov_b32 s4, 0x7f800000
	s_waitcnt vmcnt(0)
	v_lshlrev_b32_e32 v1, 24, v1
	v_and_b32_e32 v10, 0x7f000000, v1
	v_ffbh_u32_e32 v11, v10
	v_min_u32_e32 v11, 32, v11
	v_sub_u32_e64 v11, v11, 4 clamp
	v_lshlrev_b32_e32 v13, v11, v10
	v_lshlrev_b32_e32 v11, 23, v11
	v_lshrrev_b32_e32 v13, 4, v13
	v_add_u32_e32 v12, 0x1000000, v10
	v_sub_u32_e32 v11, v13, v11
	v_ashrrev_i32_e32 v12, 8, v12
	v_add_u32_e32 v11, 0x3c000000, v11
	v_and_or_b32 v11, v12, s4, v11
	v_cmp_ne_u32_e32 vcc, 0, v10
	v_cndmask_b32_e32 v10, 0, v11, vcc
	s_brev_b32 s4, 1
	v_and_or_b32 v10, v1, s4, v10
.LBB19_1530:
	s_mov_b64 s[4:5], 0
.LBB19_1531:
	s_andn2_b64 vcc, exec, s[4:5]
	s_cbranch_vccnz .LBB19_1533
; %bb.1532:
	global_load_ubyte v1, v[8:9], off
	s_movk_i32 s4, 0x7f00
	s_brev_b32 s5, 16
	s_waitcnt vmcnt(0)
	v_lshlrev_b16_e32 v10, 8, v1
	v_lshlrev_b32_e32 v1, 25, v1
	v_lshrrev_b32_e32 v11, 4, v1
	v_and_or_b32 v12, v10, s4, 0.5
	v_or_b32_e32 v11, 0x70000000, v11
	v_add_f32_e32 v12, -0.5, v12
	v_mul_f32_e32 v11, 0x7800000, v11
	v_cmp_gt_u32_e32 vcc, s5, v1
	v_bfe_i32 v10, v10, 0, 16
	v_cndmask_b32_e32 v1, v11, v12, vcc
	s_brev_b32 s4, 1
	v_and_or_b32 v10, v10, s4, v1
.LBB19_1533:
	s_mov_b64 s[4:5], 0
	s_mov_b64 s[6:7], -1
.LBB19_1534:
	s_andn2_b64 vcc, exec, s[4:5]
	s_mov_b64 s[4:5], 0
	s_cbranch_vccnz .LBB19_1545
; %bb.1535:
	s_cmp_gt_i32 s18, 14
	s_cbranch_scc0 .LBB19_1538
; %bb.1536:
	s_cmp_eq_u32 s18, 15
	s_cbranch_scc0 .LBB19_1541
; %bb.1537:
	global_load_ushort v1, v[8:9], off
	s_mov_b64 s[0:1], 0
	s_mov_b64 s[6:7], -1
	s_waitcnt vmcnt(0)
	v_lshlrev_b32_e32 v10, 16, v1
	s_branch .LBB19_1542
.LBB19_1538:
	s_mov_b64 s[12:13], -1
                                        ; implicit-def: $vgpr10
	s_branch .LBB19_1543
.LBB19_1539:
	s_or_saveexec_b64 s[6:7], s[6:7]
	v_mov_b32_e32 v10, 0x7f800001
	s_xor_b64 exec, exec, s[6:7]
	s_cbranch_execz .LBB19_1520
.LBB19_1540:
	v_cmp_ne_u16_e32 vcc, 0, v1
	s_andn2_b64 s[4:5], s[4:5], exec
	s_and_b64 s[12:13], vcc, exec
	v_mov_b32_e32 v10, 0
	s_or_b64 s[4:5], s[4:5], s[12:13]
	s_or_b64 exec, exec, s[6:7]
	s_and_saveexec_b64 s[6:7], s[4:5]
	s_cbranch_execnz .LBB19_1521
	s_branch .LBB19_1522
.LBB19_1541:
	s_mov_b64 s[0:1], -1
                                        ; implicit-def: $vgpr10
.LBB19_1542:
	s_mov_b64 s[12:13], 0
.LBB19_1543:
	s_and_b64 vcc, exec, s[12:13]
	s_cbranch_vccz .LBB19_1545
; %bb.1544:
	s_cmp_lg_u32 s18, 11
	s_mov_b64 s[4:5], -1
	s_cselect_b64 s[0:1], -1, 0
.LBB19_1545:
	s_and_b64 vcc, exec, s[0:1]
	s_cbranch_vccnz .LBB19_1620
; %bb.1546:
	s_andn2_b64 vcc, exec, s[4:5]
	s_cbranch_vccnz .LBB19_1548
.LBB19_1547:
	global_load_ubyte v1, v[8:9], off
	s_mov_b64 s[6:7], -1
	s_waitcnt vmcnt(0)
	v_cmp_ne_u16_e32 vcc, 0, v1
	v_cndmask_b32_e64 v10, 0, 1.0, vcc
.LBB19_1548:
	s_branch .LBB19_1476
.LBB19_1549:
	s_and_b32 s4, 0xffff, s17
	s_cmp_lt_i32 s4, 5
	s_cbranch_scc1 .LBB19_1554
; %bb.1550:
	s_cmp_lt_i32 s4, 8
	s_cbranch_scc1 .LBB19_1555
; %bb.1551:
	;; [unrolled: 3-line block ×3, first 2 shown]
	s_cmp_gt_i32 s4, 9
	s_cbranch_scc0 .LBB19_1557
; %bb.1553:
	global_load_dwordx2 v[10:11], v[8:9], off
	s_mov_b64 s[0:1], 0
	s_waitcnt vmcnt(0)
	v_cvt_f32_f64_e32 v10, v[10:11]
	s_branch .LBB19_1558
.LBB19_1554:
	s_mov_b64 s[0:1], -1
                                        ; implicit-def: $vgpr10
	s_branch .LBB19_1576
.LBB19_1555:
	s_mov_b64 s[0:1], -1
                                        ; implicit-def: $vgpr10
	s_branch .LBB19_1564
.LBB19_1556:
	s_mov_b64 s[0:1], -1
                                        ; implicit-def: $vgpr10
	s_branch .LBB19_1561
.LBB19_1557:
	s_mov_b64 s[0:1], -1
                                        ; implicit-def: $vgpr10
.LBB19_1558:
	s_andn2_b64 vcc, exec, s[0:1]
	s_cbranch_vccnz .LBB19_1560
; %bb.1559:
	global_load_dword v10, v[8:9], off
.LBB19_1560:
	s_mov_b64 s[0:1], 0
.LBB19_1561:
	s_andn2_b64 vcc, exec, s[0:1]
	s_cbranch_vccnz .LBB19_1563
; %bb.1562:
	global_load_dword v1, v[8:9], off
	s_waitcnt vmcnt(0)
	v_cvt_f32_f16_e32 v10, v1
.LBB19_1563:
	s_mov_b64 s[0:1], 0
.LBB19_1564:
	s_andn2_b64 vcc, exec, s[0:1]
	s_cbranch_vccnz .LBB19_1575
; %bb.1565:
	s_cmp_lt_i32 s4, 6
	s_cbranch_scc1 .LBB19_1568
; %bb.1566:
	s_cmp_gt_i32 s4, 6
	s_cbranch_scc0 .LBB19_1569
; %bb.1567:
	global_load_dwordx2 v[10:11], v[8:9], off
	s_mov_b64 s[0:1], 0
	s_waitcnt vmcnt(0)
	v_cvt_f32_f64_e32 v10, v[10:11]
	s_branch .LBB19_1570
.LBB19_1568:
	s_mov_b64 s[0:1], -1
                                        ; implicit-def: $vgpr10
	s_branch .LBB19_1573
.LBB19_1569:
	s_mov_b64 s[0:1], -1
                                        ; implicit-def: $vgpr10
.LBB19_1570:
	s_andn2_b64 vcc, exec, s[0:1]
	s_cbranch_vccnz .LBB19_1572
; %bb.1571:
	global_load_dword v10, v[8:9], off
.LBB19_1572:
	s_mov_b64 s[0:1], 0
.LBB19_1573:
	s_andn2_b64 vcc, exec, s[0:1]
	s_cbranch_vccnz .LBB19_1575
; %bb.1574:
	global_load_ushort v1, v[8:9], off
	s_waitcnt vmcnt(0)
	v_cvt_f32_f16_e32 v10, v1
.LBB19_1575:
	s_mov_b64 s[0:1], 0
.LBB19_1576:
	s_andn2_b64 vcc, exec, s[0:1]
	s_cbranch_vccnz .LBB19_1596
; %bb.1577:
	s_cmp_lt_i32 s4, 2
	s_cbranch_scc1 .LBB19_1581
; %bb.1578:
	s_cmp_lt_i32 s4, 3
	s_cbranch_scc1 .LBB19_1582
; %bb.1579:
	s_cmp_gt_i32 s4, 3
	s_cbranch_scc0 .LBB19_1583
; %bb.1580:
	global_load_dwordx2 v[10:11], v[8:9], off
	s_mov_b64 s[0:1], 0
	s_waitcnt vmcnt(0)
	v_xor_b32_e32 v12, v10, v11
	v_ffbh_i32_e32 v1, v11
	v_ashrrev_i32_e32 v12, 31, v12
	v_add_u32_e32 v1, -1, v1
	v_add_u32_e32 v12, 32, v12
	v_min_u32_e32 v1, v1, v12
	v_lshlrev_b64 v[10:11], v1, v[10:11]
	v_sub_u32_e32 v1, 32, v1
	v_min_u32_e32 v10, 1, v10
	v_or_b32_e32 v10, v11, v10
	v_cvt_f32_i32_e32 v10, v10
	v_ldexp_f32 v10, v10, v1
	s_branch .LBB19_1584
.LBB19_1581:
	s_mov_b64 s[0:1], -1
                                        ; implicit-def: $vgpr10
	s_branch .LBB19_1590
.LBB19_1582:
	s_mov_b64 s[0:1], -1
                                        ; implicit-def: $vgpr10
	s_branch .LBB19_1587
.LBB19_1583:
	s_mov_b64 s[0:1], -1
                                        ; implicit-def: $vgpr10
.LBB19_1584:
	s_andn2_b64 vcc, exec, s[0:1]
	s_cbranch_vccnz .LBB19_1586
; %bb.1585:
	global_load_dword v1, v[8:9], off
	s_waitcnt vmcnt(0)
	v_cvt_f32_i32_e32 v10, v1
.LBB19_1586:
	s_mov_b64 s[0:1], 0
.LBB19_1587:
	s_andn2_b64 vcc, exec, s[0:1]
	s_cbranch_vccnz .LBB19_1589
; %bb.1588:
	global_load_sshort v1, v[8:9], off
	s_waitcnt vmcnt(0)
	v_cvt_f32_i32_e32 v10, v1
.LBB19_1589:
	s_mov_b64 s[0:1], 0
.LBB19_1590:
	s_andn2_b64 vcc, exec, s[0:1]
	s_cbranch_vccnz .LBB19_1596
; %bb.1591:
	s_cmp_gt_i32 s4, 0
	s_cbranch_scc0 .LBB19_1593
; %bb.1592:
	global_load_sbyte v1, v[8:9], off
	s_mov_b64 s[0:1], 0
	s_waitcnt vmcnt(0)
	v_cvt_f32_i32_e32 v10, v1
	s_branch .LBB19_1594
.LBB19_1593:
	s_mov_b64 s[0:1], -1
                                        ; implicit-def: $vgpr10
.LBB19_1594:
	s_andn2_b64 vcc, exec, s[0:1]
	s_cbranch_vccnz .LBB19_1596
; %bb.1595:
	global_load_ubyte v1, v[8:9], off
	s_waitcnt vmcnt(0)
	v_cvt_f32_ubyte0_e32 v10, v1
.LBB19_1596:
.LBB19_1597:
	s_mov_b32 s0, 0x41000000
	s_waitcnt vmcnt(0)
	v_cmp_le_f32_e64 s[0:1], |v10|, s0
                                        ; implicit-def: $vgpr1
	s_and_saveexec_b64 s[4:5], s[0:1]
	s_xor_b64 s[4:5], exec, s[4:5]
	s_cbranch_execz .LBB19_1603
; %bb.1598:
	v_fma_f32 v1, |v10|, 0.5, -2.0
	v_mov_b32_e32 v8, 0xa3c2be86
	v_fmac_f32_e32 v8, 0x224cf950, v1
	v_mov_b32_e32 v9, 0xa24cf950
	v_fmac_f32_e32 v9, v1, v8
	v_add_f32_e32 v9, 0x25331f1f, v9
	v_fma_f32 v8, v1, v9, -v8
	v_add_f32_e32 v8, 0xa69f5554, v8
	v_fma_f32 v9, v1, v8, -v9
	;; [unrolled: 2-line block ×25, first 2 shown]
	v_add_f32_e32 v8, 0xbe34a688, v8
	s_mov_b32 s0, 0x3fb8aa3b
	v_fma_f32 v1, v1, v8, -v9
	v_mul_f32_e64 v8, |v10|, s0
	v_rndne_f32_e32 v11, v8
	v_sub_f32_e32 v12, v8, v11
	v_fma_f32 v8, |v10|, s0, -v8
	s_mov_b32 s0, 0x32a5705f
	v_fma_f32 v8, |v10|, s0, v8
	v_add_f32_e32 v8, v12, v8
	v_exp_f32_e32 v12, v8
	v_cvt_i32_f32_e32 v11, v11
	v_add_f32_e32 v1, 0x3e81531c, v1
	v_sub_f32_e32 v1, v1, v9
	v_mul_f32_e32 v1, 0.5, v1
	s_mov_b32 s0, 0xc2ce8ed0
	v_mul_f32_e64 v8, |v10|, v1
	v_ldexp_f32 v1, v12, v11
	v_cmp_nlt_f32_e64 s[0:1], |v10|, s0
	v_cndmask_b32_e64 v1, 0, v1, s[0:1]
	s_mov_b32 s0, 0x42b17218
	v_mov_b32_e32 v9, 0x7f800000
	v_cmp_ngt_f32_e64 s[0:1], |v10|, s0
	v_cmp_ngt_f32_e32 vcc, 0, v10
	v_cndmask_b32_e64 v9, v9, v1, s[0:1]
                                        ; implicit-def: $vgpr1
	s_and_saveexec_b64 s[0:1], vcc
	s_xor_b64 s[0:1], exec, s[0:1]
; %bb.1599:
	v_mul_f32_e32 v1, v9, v8
                                        ; implicit-def: $vgpr9
                                        ; implicit-def: $vgpr8
; %bb.1600:
	s_andn2_saveexec_b64 s[0:1], s[0:1]
; %bb.1601:
	v_mul_f32_e64 v1, v8, -v9
; %bb.1602:
	s_or_b64 exec, exec, s[0:1]
                                        ; implicit-def: $vgpr10
.LBB19_1603:
	s_andn2_saveexec_b64 s[4:5], s[4:5]
	s_cbranch_execz .LBB19_1609
; %bb.1604:
	v_and_b32_e32 v1, 0x7fffffff, v10
	s_mov_b32 s6, 0x42000000
	v_div_scale_f32 v8, s[0:1], v1, v1, s6
	v_div_scale_f32 v1, vcc, s6, v1, s6
	s_mov_b32 s7, 0x3fb8aa3b
	s_mov_b32 s12, 0x32a5705f
	v_mov_b32_e32 v9, 0x22a2dc57
	v_mov_b32_e32 v12, 0xa30aab6e
	v_cmp_ngt_f32_e64 s[0:1], 0, v10
	v_rcp_f32_e32 v11, v8
	v_fma_f32 v13, -v8, v11, 1.0
	v_fmac_f32_e32 v11, v13, v11
	v_mul_f32_e32 v13, v1, v11
	v_fma_f32 v14, -v8, v13, v1
	v_fmac_f32_e32 v13, v14, v11
	v_fma_f32 v1, -v8, v13, v1
	v_div_fmas_f32 v1, v1, v11, v13
	v_mul_f32_e64 v8, |v10|, s7
	v_rndne_f32_e32 v11, v8
	v_fma_f32 v13, |v10|, s7, -v8
	v_sub_f32_e32 v8, v8, v11
	v_fma_f32 v13, |v10|, s12, v13
	v_add_f32_e32 v8, v8, v13
	v_cvt_i32_f32_e32 v11, v11
	v_exp_f32_e32 v8, v8
	s_mov_b32 s7, 0xc2ce8ed0
	s_mov_b32 s12, 0x42b17218
	v_cmp_nlt_f32_e64 vcc, |v10|, s7
	v_ldexp_f32 v8, v8, v11
	v_mov_b32_e32 v13, 0x7f800000
	v_cndmask_b32_e32 v8, 0, v8, vcc
	v_cmp_ngt_f32_e64 vcc, |v10|, s12
	v_div_fixup_f32 v1, v1, |v10|, s6
	v_add_f32_e32 v1, -2.0, v1
	v_fmac_f32_e32 v9, 0x230aab6e, v1
	v_fmac_f32_e32 v12, v1, v9
	v_add_f32_e32 v11, 0xa456751e, v12
	v_fma_f32 v9, v1, v11, -v9
	v_add_f32_e32 v9, 0xa4140365, v9
	v_fma_f32 v11, v1, v9, -v11
	;; [unrolled: 2-line block ×22, first 2 shown]
	v_add_f32_e32 v1, 0x3f4750c6, v1
	v_cndmask_b32_e32 v8, v13, v8, vcc
	v_sub_f32_e32 v9, v1, v11
                                        ; implicit-def: $vgpr1
	s_and_saveexec_b64 s[6:7], s[0:1]
	s_xor_b64 s[6:7], exec, s[6:7]
	s_cbranch_execz .LBB19_1606
; %bb.1605:
	s_mov_b32 s0, 0xf800000
	s_mov_b32 s1, 0x4f800000
	v_mul_f32_e64 v1, |v10|, s1
	v_cmp_lt_f32_e64 vcc, |v10|, s0
	v_cndmask_b32_e64 v1, |v10|, v1, vcc
	v_sqrt_f32_e32 v10, v1
	v_mul_f32_e32 v9, 0.5, v9
	v_mul_f32_e32 v8, v8, v9
	v_add_u32_e32 v9, -1, v10
	v_fma_f32 v11, -v9, v10, v1
	v_cmp_ge_f32_e64 s[0:1], 0, v11
	v_add_u32_e32 v11, 1, v10
	v_cndmask_b32_e64 v9, v10, v9, s[0:1]
	v_fma_f32 v10, -v11, v10, v1
	v_cmp_lt_f32_e64 s[0:1], 0, v10
	v_cndmask_b32_e64 v9, v9, v11, s[0:1]
	v_mul_f32_e32 v10, 0x37800000, v9
	v_cndmask_b32_e32 v9, v9, v10, vcc
	v_mov_b32_e32 v10, 0x260
	v_cmp_class_f32_e32 vcc, v1, v10
	v_cndmask_b32_e32 v1, v9, v1, vcc
	v_div_scale_f32 v9, s[0:1], v1, v1, v8
	v_div_scale_f32 v10, vcc, v8, v1, v8
	v_rcp_f32_e32 v11, v9
	v_fma_f32 v12, -v9, v11, 1.0
	v_fmac_f32_e32 v11, v12, v11
	v_mul_f32_e32 v12, v10, v11
	v_fma_f32 v13, -v9, v12, v10
	v_fmac_f32_e32 v12, v13, v11
	v_fma_f32 v9, -v9, v12, v10
	v_div_fmas_f32 v9, v9, v11, v12
                                        ; implicit-def: $vgpr10
	v_div_fixup_f32 v1, v9, v1, v8
                                        ; implicit-def: $vgpr9
                                        ; implicit-def: $vgpr8
.LBB19_1606:
	s_andn2_saveexec_b64 s[6:7], s[6:7]
	s_cbranch_execz .LBB19_1608
; %bb.1607:
	s_mov_b32 s0, 0xf800000
	s_mov_b32 s1, 0x4f800000
	v_mul_f32_e64 v1, |v10|, s1
	v_cmp_lt_f32_e64 vcc, |v10|, s0
	v_cndmask_b32_e64 v1, |v10|, v1, vcc
	v_sqrt_f32_e32 v10, v1
	v_mul_f32_e32 v9, -0.5, v9
	v_mul_f32_e32 v8, v8, v9
	v_add_u32_e32 v11, -1, v10
	v_fma_f32 v12, -v11, v10, v1
	v_cmp_ge_f32_e64 s[0:1], 0, v12
	v_add_u32_e32 v12, 1, v10
	v_cndmask_b32_e64 v11, v10, v11, s[0:1]
	v_fma_f32 v10, -v12, v10, v1
	v_cmp_lt_f32_e64 s[0:1], 0, v10
	v_cndmask_b32_e64 v10, v11, v12, s[0:1]
	v_mul_f32_e32 v11, 0x37800000, v10
	v_cndmask_b32_e32 v10, v10, v11, vcc
	v_mov_b32_e32 v11, 0x260
	v_cmp_class_f32_e32 vcc, v1, v11
	v_cndmask_b32_e32 v1, v10, v1, vcc
	v_div_scale_f32 v9, s[0:1], v1, v1, v8
	v_div_scale_f32 v10, vcc, v8, v1, v8
	v_rcp_f32_e32 v11, v9
	v_fma_f32 v12, -v9, v11, 1.0
	v_fmac_f32_e32 v11, v12, v11
	v_mul_f32_e32 v12, v10, v11
	v_fma_f32 v13, -v9, v12, v10
	v_fmac_f32_e32 v12, v13, v11
	v_fma_f32 v9, -v9, v12, v10
	v_div_fmas_f32 v9, v9, v11, v12
	v_div_fixup_f32 v1, v9, v1, v8
.LBB19_1608:
	s_or_b64 exec, exec, s[6:7]
.LBB19_1609:
	s_or_b64 exec, exec, s[4:5]
	v_mov_b32_e32 v8, s11
	v_add_co_u32_e32 v7, vcc, s10, v7
	s_cmp_lt_i32 s17, 11
	v_addc_co_u32_e32 v8, vcc, 0, v8, vcc
	s_cbranch_scc1 .LBB19_1616
; %bb.1610:
	s_and_b32 s14, 0xffff, s17
	s_cmp_gt_i32 s14, 25
	s_mov_b64 s[4:5], 0
	s_cbranch_scc0 .LBB19_1617
; %bb.1611:
	s_cmp_gt_i32 s14, 28
	s_cbranch_scc0 .LBB19_1618
; %bb.1612:
	s_cmp_gt_i32 s14, 43
	;; [unrolled: 3-line block ×3, first 2 shown]
	s_cbranch_scc0 .LBB19_1621
; %bb.1614:
	s_cmp_eq_u32 s14, 46
	s_mov_b64 s[10:11], 0
	s_cbranch_scc0 .LBB19_1622
; %bb.1615:
	global_load_dword v9, v[7:8], off
	s_mov_b64 s[0:1], 0
	s_mov_b64 s[6:7], -1
	s_waitcnt vmcnt(0)
	v_lshlrev_b32_e32 v9, 16, v9
	s_branch .LBB19_1623
.LBB19_1616:
	s_mov_b64 s[0:1], -1
	s_mov_b64 s[6:7], 0
                                        ; implicit-def: $vgpr9
	s_branch .LBB19_1689
.LBB19_1617:
	s_mov_b64 s[10:11], -1
	s_mov_b64 s[6:7], 0
	s_mov_b64 s[0:1], 0
                                        ; implicit-def: $vgpr9
	s_branch .LBB19_1652
.LBB19_1618:
	s_mov_b64 s[10:11], -1
	s_mov_b64 s[6:7], 0
	s_mov_b64 s[0:1], 0
                                        ; implicit-def: $vgpr9
	s_branch .LBB19_1633
.LBB19_1619:
	s_mov_b64 s[10:11], -1
	s_mov_b64 s[6:7], 0
	s_mov_b64 s[0:1], 0
                                        ; implicit-def: $vgpr9
	s_branch .LBB19_1628
.LBB19_1620:
	s_trap 2
	s_or_b64 s[2:3], s[2:3], exec
	s_cbranch_execz .LBB19_1547
	s_branch .LBB19_1548
.LBB19_1621:
	s_mov_b64 s[10:11], -1
	s_mov_b64 s[6:7], 0
	s_mov_b64 s[0:1], 0
                                        ; implicit-def: $vgpr9
	s_branch .LBB19_1623
.LBB19_1622:
	s_mov_b64 s[0:1], -1
                                        ; implicit-def: $vgpr9
	s_mov_b64 s[6:7], 0
.LBB19_1623:
	s_and_b64 vcc, exec, s[10:11]
	s_cbranch_vccz .LBB19_1627
; %bb.1624:
	s_cmp_eq_u32 s14, 44
	s_cbranch_scc0 .LBB19_1626
; %bb.1625:
	global_load_ubyte v9, v[7:8], off
	s_movk_i32 s6, 0xff
	v_mov_b32_e32 v10, 0x7f800001
	v_mov_b32_e32 v11, 0x400000
	s_mov_b64 s[0:1], 0
	s_waitcnt vmcnt(0)
	v_lshlrev_b32_e32 v12, 23, v9
	v_cmp_ne_u32_e32 vcc, s6, v9
	v_cndmask_b32_e32 v10, v10, v12, vcc
	v_cmp_ne_u32_e32 vcc, 0, v9
	v_cndmask_b32_e32 v9, v11, v10, vcc
	s_mov_b64 s[6:7], -1
	s_branch .LBB19_1627
.LBB19_1626:
	s_mov_b64 s[0:1], -1
                                        ; implicit-def: $vgpr9
.LBB19_1627:
	s_mov_b64 s[10:11], 0
.LBB19_1628:
	s_and_b64 vcc, exec, s[10:11]
	s_cbranch_vccz .LBB19_1632
; %bb.1629:
	s_cmp_eq_u32 s14, 29
	s_cbranch_scc0 .LBB19_1631
; %bb.1630:
	global_load_dwordx2 v[9:10], v[7:8], off
	s_mov_b64 s[0:1], 0
	s_mov_b64 s[6:7], -1
	s_mov_b64 s[10:11], 0
	s_waitcnt vmcnt(0)
	v_ffbh_u32_e32 v11, v10
	v_min_u32_e32 v11, 32, v11
	v_lshlrev_b64 v[9:10], v11, v[9:10]
	v_min_u32_e32 v9, 1, v9
	v_or_b32_e32 v9, v10, v9
	v_cvt_f32_u32_e32 v9, v9
	v_sub_u32_e32 v10, 32, v11
	v_ldexp_f32 v9, v9, v10
	s_branch .LBB19_1633
.LBB19_1631:
	s_mov_b64 s[0:1], -1
                                        ; implicit-def: $vgpr9
.LBB19_1632:
	s_mov_b64 s[10:11], 0
.LBB19_1633:
	s_and_b64 vcc, exec, s[10:11]
	s_cbranch_vccz .LBB19_1651
; %bb.1634:
	s_cmp_lt_i32 s14, 27
	s_cbranch_scc1 .LBB19_1637
; %bb.1635:
	s_cmp_gt_i32 s14, 27
	s_cbranch_scc0 .LBB19_1638
; %bb.1636:
	global_load_dword v9, v[7:8], off
	s_mov_b64 s[6:7], 0
	s_waitcnt vmcnt(0)
	v_cvt_f32_u32_e32 v9, v9
	s_branch .LBB19_1639
.LBB19_1637:
	s_mov_b64 s[6:7], -1
                                        ; implicit-def: $vgpr9
	s_branch .LBB19_1642
.LBB19_1638:
	s_mov_b64 s[6:7], -1
                                        ; implicit-def: $vgpr9
.LBB19_1639:
	s_andn2_b64 vcc, exec, s[6:7]
	s_cbranch_vccnz .LBB19_1641
; %bb.1640:
	global_load_ushort v9, v[7:8], off
	s_waitcnt vmcnt(0)
	v_cvt_f32_u32_e32 v9, v9
.LBB19_1641:
	s_mov_b64 s[6:7], 0
.LBB19_1642:
	s_andn2_b64 vcc, exec, s[6:7]
	s_cbranch_vccnz .LBB19_1650
; %bb.1643:
	global_load_ubyte v10, v[7:8], off
	s_movk_i32 s6, 0x7f
	s_waitcnt vmcnt(0)
	v_cmp_lt_i16_e32 vcc, s6, v10
	s_mov_b64 s[6:7], 0
	s_and_saveexec_b64 s[10:11], vcc
	s_xor_b64 s[10:11], exec, s[10:11]
	s_cbranch_execz .LBB19_1664
; %bb.1644:
	s_movk_i32 s6, 0x80
	v_cmp_eq_u16_e32 vcc, s6, v10
	s_mov_b64 s[6:7], -1
	s_and_saveexec_b64 s[12:13], vcc
; %bb.1645:
	s_xor_b64 s[6:7], exec, -1
; %bb.1646:
	s_or_b64 exec, exec, s[12:13]
	s_and_b64 s[6:7], s[6:7], exec
	s_or_saveexec_b64 s[10:11], s[10:11]
	v_mov_b32_e32 v9, 0x7f800001
	s_xor_b64 exec, exec, s[10:11]
	s_cbranch_execnz .LBB19_1665
.LBB19_1647:
	s_or_b64 exec, exec, s[10:11]
	s_and_saveexec_b64 s[10:11], s[6:7]
	s_cbranch_execz .LBB19_1649
.LBB19_1648:
	v_lshlrev_b32_e32 v9, 24, v10
	v_and_b32_e32 v10, 0xffff, v10
	v_and_b32_e32 v11, 7, v10
	v_ffbh_u32_e32 v13, v11
	v_min_u32_e32 v13, 32, v13
	v_subrev_u32_e32 v14, 28, v13
	v_bfe_u32 v12, v10, 3, 4
	v_lshlrev_b32_e32 v10, v14, v10
	v_sub_u32_e32 v13, 29, v13
	v_and_b32_e32 v10, 7, v10
	v_cmp_eq_u32_e32 vcc, 0, v12
	v_cndmask_b32_e32 v12, v12, v13, vcc
	v_cndmask_b32_e32 v10, v11, v10, vcc
	v_mov_b32_e32 v11, 0x3b800000
	v_lshlrev_b32_e32 v10, 20, v10
	v_and_b32_e32 v9, 0x80000000, v9
	v_lshl_add_u32 v11, v12, 23, v11
	v_or3_b32 v9, v9, v11, v10
.LBB19_1649:
	s_or_b64 exec, exec, s[10:11]
.LBB19_1650:
	s_mov_b64 s[6:7], -1
.LBB19_1651:
	s_mov_b64 s[10:11], 0
.LBB19_1652:
	s_and_b64 vcc, exec, s[10:11]
	s_cbranch_vccz .LBB19_1685
; %bb.1653:
	s_cmp_gt_i32 s14, 22
	s_cbranch_scc0 .LBB19_1663
; %bb.1654:
	s_cmp_lt_i32 s14, 24
	s_cbranch_scc1 .LBB19_1666
; %bb.1655:
	s_cmp_gt_i32 s14, 24
	s_cbranch_scc0 .LBB19_1667
; %bb.1656:
	global_load_ubyte v10, v[7:8], off
	s_movk_i32 s4, 0x7f
	s_waitcnt vmcnt(0)
	v_cmp_lt_i16_e32 vcc, s4, v10
	s_mov_b64 s[4:5], 0
	s_and_saveexec_b64 s[6:7], vcc
	s_xor_b64 s[6:7], exec, s[6:7]
	s_cbranch_execz .LBB19_1679
; %bb.1657:
	s_movk_i32 s4, 0x80
	v_cmp_eq_u16_e32 vcc, s4, v10
	s_mov_b64 s[4:5], -1
	s_and_saveexec_b64 s[10:11], vcc
; %bb.1658:
	s_xor_b64 s[4:5], exec, -1
; %bb.1659:
	s_or_b64 exec, exec, s[10:11]
	s_and_b64 s[4:5], s[4:5], exec
	s_or_saveexec_b64 s[6:7], s[6:7]
	v_mov_b32_e32 v9, 0x7f800001
	s_xor_b64 exec, exec, s[6:7]
	s_cbranch_execnz .LBB19_1680
.LBB19_1660:
	s_or_b64 exec, exec, s[6:7]
	s_and_saveexec_b64 s[6:7], s[4:5]
	s_cbranch_execz .LBB19_1662
.LBB19_1661:
	v_lshlrev_b32_e32 v9, 24, v10
	v_and_b32_e32 v10, 0xffff, v10
	v_and_b32_e32 v11, 3, v10
	v_ffbh_u32_e32 v13, v11
	v_min_u32_e32 v13, 32, v13
	v_subrev_u32_e32 v14, 29, v13
	v_bfe_u32 v12, v10, 2, 5
	v_lshlrev_b32_e32 v10, v14, v10
	v_sub_u32_e32 v13, 30, v13
	v_and_b32_e32 v10, 3, v10
	v_cmp_eq_u32_e32 vcc, 0, v12
	v_cndmask_b32_e32 v12, v12, v13, vcc
	v_cndmask_b32_e32 v10, v11, v10, vcc
	v_mov_b32_e32 v11, 0x37800000
	v_lshlrev_b32_e32 v10, 21, v10
	v_and_b32_e32 v9, 0x80000000, v9
	v_lshl_add_u32 v11, v12, 23, v11
	v_or3_b32 v9, v9, v11, v10
.LBB19_1662:
	s_or_b64 exec, exec, s[6:7]
	s_mov_b64 s[4:5], 0
	s_branch .LBB19_1668
.LBB19_1663:
	s_mov_b64 s[4:5], -1
                                        ; implicit-def: $vgpr9
	s_branch .LBB19_1674
.LBB19_1664:
	s_or_saveexec_b64 s[10:11], s[10:11]
	v_mov_b32_e32 v9, 0x7f800001
	s_xor_b64 exec, exec, s[10:11]
	s_cbranch_execz .LBB19_1647
.LBB19_1665:
	v_cmp_ne_u16_e32 vcc, 0, v10
	s_andn2_b64 s[6:7], s[6:7], exec
	s_and_b64 s[12:13], vcc, exec
	v_mov_b32_e32 v9, 0
	s_or_b64 s[6:7], s[6:7], s[12:13]
	s_or_b64 exec, exec, s[10:11]
	s_and_saveexec_b64 s[10:11], s[6:7]
	s_cbranch_execnz .LBB19_1648
	s_branch .LBB19_1649
.LBB19_1666:
	s_mov_b64 s[4:5], -1
                                        ; implicit-def: $vgpr9
	s_branch .LBB19_1671
.LBB19_1667:
	s_mov_b64 s[4:5], -1
                                        ; implicit-def: $vgpr9
.LBB19_1668:
	s_and_b64 vcc, exec, s[4:5]
	s_cbranch_vccz .LBB19_1670
; %bb.1669:
	global_load_ubyte v9, v[7:8], off
	s_mov_b32 s4, 0x7f800000
	s_waitcnt vmcnt(0)
	v_lshlrev_b32_e32 v9, 24, v9
	v_and_b32_e32 v10, 0x7f000000, v9
	v_ffbh_u32_e32 v11, v10
	v_min_u32_e32 v11, 32, v11
	v_sub_u32_e64 v11, v11, 4 clamp
	v_lshlrev_b32_e32 v13, v11, v10
	v_lshlrev_b32_e32 v11, 23, v11
	v_lshrrev_b32_e32 v13, 4, v13
	v_add_u32_e32 v12, 0x1000000, v10
	v_sub_u32_e32 v11, v13, v11
	v_ashrrev_i32_e32 v12, 8, v12
	v_add_u32_e32 v11, 0x3c000000, v11
	v_and_or_b32 v11, v12, s4, v11
	v_cmp_ne_u32_e32 vcc, 0, v10
	v_cndmask_b32_e32 v10, 0, v11, vcc
	s_brev_b32 s4, 1
	v_and_or_b32 v9, v9, s4, v10
.LBB19_1670:
	s_mov_b64 s[4:5], 0
.LBB19_1671:
	s_andn2_b64 vcc, exec, s[4:5]
	s_cbranch_vccnz .LBB19_1673
; %bb.1672:
	global_load_ubyte v9, v[7:8], off
	s_movk_i32 s4, 0x7f00
	s_brev_b32 s5, 16
	s_waitcnt vmcnt(0)
	v_lshlrev_b16_e32 v10, 8, v9
	v_lshlrev_b32_e32 v9, 25, v9
	v_lshrrev_b32_e32 v11, 4, v9
	v_and_or_b32 v12, v10, s4, 0.5
	v_or_b32_e32 v11, 0x70000000, v11
	v_add_f32_e32 v12, -0.5, v12
	v_mul_f32_e32 v11, 0x7800000, v11
	v_cmp_gt_u32_e32 vcc, s5, v9
	v_bfe_i32 v10, v10, 0, 16
	v_cndmask_b32_e32 v9, v11, v12, vcc
	s_brev_b32 s4, 1
	v_and_or_b32 v9, v10, s4, v9
.LBB19_1673:
	s_mov_b64 s[4:5], 0
	s_mov_b64 s[6:7], -1
.LBB19_1674:
	s_andn2_b64 vcc, exec, s[4:5]
	s_mov_b64 s[4:5], 0
	s_cbranch_vccnz .LBB19_1685
; %bb.1675:
	s_cmp_gt_i32 s14, 14
	s_cbranch_scc0 .LBB19_1678
; %bb.1676:
	s_cmp_eq_u32 s14, 15
	s_cbranch_scc0 .LBB19_1681
; %bb.1677:
	global_load_ushort v9, v[7:8], off
	s_mov_b64 s[0:1], 0
	s_mov_b64 s[6:7], -1
	s_waitcnt vmcnt(0)
	v_lshlrev_b32_e32 v9, 16, v9
	s_branch .LBB19_1682
.LBB19_1678:
	s_mov_b64 s[10:11], -1
                                        ; implicit-def: $vgpr9
	s_branch .LBB19_1683
.LBB19_1679:
	s_or_saveexec_b64 s[6:7], s[6:7]
	v_mov_b32_e32 v9, 0x7f800001
	s_xor_b64 exec, exec, s[6:7]
	s_cbranch_execz .LBB19_1660
.LBB19_1680:
	v_cmp_ne_u16_e32 vcc, 0, v10
	s_andn2_b64 s[4:5], s[4:5], exec
	s_and_b64 s[10:11], vcc, exec
	v_mov_b32_e32 v9, 0
	s_or_b64 s[4:5], s[4:5], s[10:11]
	s_or_b64 exec, exec, s[6:7]
	s_and_saveexec_b64 s[6:7], s[4:5]
	s_cbranch_execnz .LBB19_1661
	s_branch .LBB19_1662
.LBB19_1681:
	s_mov_b64 s[0:1], -1
                                        ; implicit-def: $vgpr9
.LBB19_1682:
	s_mov_b64 s[10:11], 0
.LBB19_1683:
	s_and_b64 vcc, exec, s[10:11]
	s_cbranch_vccz .LBB19_1685
; %bb.1684:
	s_cmp_lg_u32 s14, 11
	s_mov_b64 s[4:5], -1
	s_cselect_b64 s[0:1], -1, 0
.LBB19_1685:
	s_and_b64 vcc, exec, s[0:1]
	s_cbranch_vccnz .LBB19_2232
; %bb.1686:
	s_andn2_b64 vcc, exec, s[4:5]
	s_cbranch_vccnz .LBB19_1688
.LBB19_1687:
	global_load_ubyte v9, v[7:8], off
	s_mov_b64 s[6:7], -1
	s_waitcnt vmcnt(0)
	v_cmp_ne_u16_e32 vcc, 0, v9
	v_cndmask_b32_e64 v9, 0, 1.0, vcc
.LBB19_1688:
	s_mov_b64 s[0:1], 0
.LBB19_1689:
	s_and_b64 vcc, exec, s[0:1]
	s_cbranch_vccz .LBB19_1738
; %bb.1690:
	s_and_b32 s4, 0xffff, s17
	s_cmp_lt_i32 s4, 5
	s_cbranch_scc1 .LBB19_1695
; %bb.1691:
	s_cmp_lt_i32 s4, 8
	s_cbranch_scc1 .LBB19_1696
; %bb.1692:
	s_cmp_lt_i32 s4, 9
	s_cbranch_scc1 .LBB19_1697
; %bb.1693:
	s_cmp_gt_i32 s4, 9
	s_cbranch_scc0 .LBB19_1698
; %bb.1694:
	global_load_dwordx2 v[9:10], v[7:8], off
	s_mov_b64 s[0:1], 0
	s_waitcnt vmcnt(0)
	v_cvt_f32_f64_e32 v9, v[9:10]
	s_branch .LBB19_1699
.LBB19_1695:
	s_mov_b64 s[0:1], -1
                                        ; implicit-def: $vgpr9
	s_branch .LBB19_1717
.LBB19_1696:
	s_mov_b64 s[0:1], -1
                                        ; implicit-def: $vgpr9
	s_branch .LBB19_1705
.LBB19_1697:
	s_mov_b64 s[0:1], -1
                                        ; implicit-def: $vgpr9
	s_branch .LBB19_1702
.LBB19_1698:
	s_mov_b64 s[0:1], -1
                                        ; implicit-def: $vgpr9
.LBB19_1699:
	s_andn2_b64 vcc, exec, s[0:1]
	s_cbranch_vccnz .LBB19_1701
; %bb.1700:
	global_load_dword v9, v[7:8], off
.LBB19_1701:
	s_mov_b64 s[0:1], 0
.LBB19_1702:
	s_andn2_b64 vcc, exec, s[0:1]
	s_cbranch_vccnz .LBB19_1704
; %bb.1703:
	global_load_dword v9, v[7:8], off
	s_waitcnt vmcnt(0)
	v_cvt_f32_f16_e32 v9, v9
.LBB19_1704:
	s_mov_b64 s[0:1], 0
.LBB19_1705:
	s_andn2_b64 vcc, exec, s[0:1]
	s_cbranch_vccnz .LBB19_1716
; %bb.1706:
	s_cmp_lt_i32 s4, 6
	s_cbranch_scc1 .LBB19_1709
; %bb.1707:
	s_cmp_gt_i32 s4, 6
	s_cbranch_scc0 .LBB19_1710
; %bb.1708:
	global_load_dwordx2 v[9:10], v[7:8], off
	s_mov_b64 s[0:1], 0
	s_waitcnt vmcnt(0)
	v_cvt_f32_f64_e32 v9, v[9:10]
	s_branch .LBB19_1711
.LBB19_1709:
	s_mov_b64 s[0:1], -1
                                        ; implicit-def: $vgpr9
	s_branch .LBB19_1714
.LBB19_1710:
	s_mov_b64 s[0:1], -1
                                        ; implicit-def: $vgpr9
.LBB19_1711:
	s_andn2_b64 vcc, exec, s[0:1]
	s_cbranch_vccnz .LBB19_1713
; %bb.1712:
	global_load_dword v9, v[7:8], off
.LBB19_1713:
	s_mov_b64 s[0:1], 0
.LBB19_1714:
	s_andn2_b64 vcc, exec, s[0:1]
	s_cbranch_vccnz .LBB19_1716
; %bb.1715:
	global_load_ushort v9, v[7:8], off
	s_waitcnt vmcnt(0)
	v_cvt_f32_f16_e32 v9, v9
.LBB19_1716:
	s_mov_b64 s[0:1], 0
.LBB19_1717:
	s_andn2_b64 vcc, exec, s[0:1]
	s_cbranch_vccnz .LBB19_1737
; %bb.1718:
	s_cmp_lt_i32 s4, 2
	s_cbranch_scc1 .LBB19_1722
; %bb.1719:
	s_cmp_lt_i32 s4, 3
	s_cbranch_scc1 .LBB19_1723
; %bb.1720:
	s_cmp_gt_i32 s4, 3
	s_cbranch_scc0 .LBB19_1724
; %bb.1721:
	global_load_dwordx2 v[9:10], v[7:8], off
	s_mov_b64 s[0:1], 0
	s_waitcnt vmcnt(0)
	v_xor_b32_e32 v12, v9, v10
	v_ffbh_i32_e32 v11, v10
	v_ashrrev_i32_e32 v12, 31, v12
	v_add_u32_e32 v11, -1, v11
	v_add_u32_e32 v12, 32, v12
	v_min_u32_e32 v11, v11, v12
	v_lshlrev_b64 v[9:10], v11, v[9:10]
	v_min_u32_e32 v9, 1, v9
	v_or_b32_e32 v9, v10, v9
	v_cvt_f32_i32_e32 v9, v9
	v_sub_u32_e32 v10, 32, v11
	v_ldexp_f32 v9, v9, v10
	s_branch .LBB19_1725
.LBB19_1722:
	s_mov_b64 s[0:1], -1
                                        ; implicit-def: $vgpr9
	s_branch .LBB19_1731
.LBB19_1723:
	s_mov_b64 s[0:1], -1
                                        ; implicit-def: $vgpr9
	s_branch .LBB19_1728
.LBB19_1724:
	s_mov_b64 s[0:1], -1
                                        ; implicit-def: $vgpr9
.LBB19_1725:
	s_andn2_b64 vcc, exec, s[0:1]
	s_cbranch_vccnz .LBB19_1727
; %bb.1726:
	global_load_dword v9, v[7:8], off
	s_waitcnt vmcnt(0)
	v_cvt_f32_i32_e32 v9, v9
.LBB19_1727:
	s_mov_b64 s[0:1], 0
.LBB19_1728:
	s_andn2_b64 vcc, exec, s[0:1]
	s_cbranch_vccnz .LBB19_1730
; %bb.1729:
	global_load_sshort v9, v[7:8], off
	s_waitcnt vmcnt(0)
	v_cvt_f32_i32_e32 v9, v9
.LBB19_1730:
	s_mov_b64 s[0:1], 0
.LBB19_1731:
	s_andn2_b64 vcc, exec, s[0:1]
	s_cbranch_vccnz .LBB19_1737
; %bb.1732:
	s_cmp_gt_i32 s4, 0
	s_cbranch_scc0 .LBB19_1734
; %bb.1733:
	global_load_sbyte v9, v[7:8], off
	s_mov_b64 s[0:1], 0
	s_waitcnt vmcnt(0)
	v_cvt_f32_i32_e32 v9, v9
	s_branch .LBB19_1735
.LBB19_1734:
	s_mov_b64 s[0:1], -1
                                        ; implicit-def: $vgpr9
.LBB19_1735:
	s_andn2_b64 vcc, exec, s[0:1]
	s_cbranch_vccnz .LBB19_1737
; %bb.1736:
	global_load_ubyte v7, v[7:8], off
	s_waitcnt vmcnt(0)
	v_cvt_f32_ubyte0_e32 v9, v7
.LBB19_1737:
	s_mov_b64 s[6:7], -1
.LBB19_1738:
	s_andn2_b64 vcc, exec, s[6:7]
	s_cbranch_vccnz .LBB19_1829
; %bb.1739:
	s_mov_b32 s0, 0x41000000
	s_waitcnt vmcnt(0)
	v_cmp_le_f32_e64 s[0:1], |v9|, s0
                                        ; implicit-def: $vgpr7
	s_and_saveexec_b64 s[4:5], s[0:1]
	s_xor_b64 s[4:5], exec, s[4:5]
	s_cbranch_execz .LBB19_1745
; %bb.1740:
	v_fma_f32 v7, |v9|, 0.5, -2.0
	v_mov_b32_e32 v8, 0xa3c2be86
	v_fmac_f32_e32 v8, 0x224cf950, v7
	v_mov_b32_e32 v10, 0xa24cf950
	v_fmac_f32_e32 v10, v7, v8
	v_add_f32_e32 v10, 0x25331f1f, v10
	v_fma_f32 v8, v7, v10, -v8
	v_add_f32_e32 v8, 0xa69f5554, v8
	v_fma_f32 v10, v7, v8, -v10
	;; [unrolled: 2-line block ×25, first 2 shown]
	v_add_f32_e32 v8, 0xbe34a688, v8
	s_mov_b32 s0, 0x3fb8aa3b
	v_fma_f32 v7, v7, v8, -v10
	v_mul_f32_e64 v8, |v9|, s0
	v_rndne_f32_e32 v11, v8
	v_sub_f32_e32 v12, v8, v11
	v_fma_f32 v8, |v9|, s0, -v8
	s_mov_b32 s0, 0x32a5705f
	v_fma_f32 v8, |v9|, s0, v8
	v_add_f32_e32 v8, v12, v8
	v_exp_f32_e32 v12, v8
	v_cvt_i32_f32_e32 v11, v11
	v_add_f32_e32 v7, 0x3e81531c, v7
	v_sub_f32_e32 v7, v7, v10
	v_mul_f32_e32 v7, 0.5, v7
	s_mov_b32 s0, 0xc2ce8ed0
	v_mul_f32_e64 v8, |v9|, v7
	v_ldexp_f32 v7, v12, v11
	v_cmp_nlt_f32_e64 s[0:1], |v9|, s0
	v_cndmask_b32_e64 v7, 0, v7, s[0:1]
	s_mov_b32 s0, 0x42b17218
	v_mov_b32_e32 v10, 0x7f800000
	v_cmp_ngt_f32_e64 s[0:1], |v9|, s0
	v_cmp_ngt_f32_e32 vcc, 0, v9
	v_cndmask_b32_e64 v9, v10, v7, s[0:1]
                                        ; implicit-def: $vgpr7
	s_and_saveexec_b64 s[0:1], vcc
	s_xor_b64 s[0:1], exec, s[0:1]
; %bb.1741:
	v_mul_f32_e32 v7, v9, v8
                                        ; implicit-def: $vgpr9
                                        ; implicit-def: $vgpr8
; %bb.1742:
	s_andn2_saveexec_b64 s[0:1], s[0:1]
; %bb.1743:
	v_mul_f32_e64 v7, v8, -v9
; %bb.1744:
	s_or_b64 exec, exec, s[0:1]
                                        ; implicit-def: $vgpr9
.LBB19_1745:
	s_andn2_saveexec_b64 s[4:5], s[4:5]
	s_cbranch_execz .LBB19_1751
; %bb.1746:
	v_and_b32_e32 v7, 0x7fffffff, v9
	s_mov_b32 s6, 0x42000000
	v_div_scale_f32 v8, s[0:1], v7, v7, s6
	v_div_scale_f32 v7, vcc, s6, v7, s6
	s_mov_b32 s7, 0x3fb8aa3b
	s_mov_b32 s10, 0x32a5705f
	v_mov_b32_e32 v10, 0x22a2dc57
	v_mov_b32_e32 v12, 0xa30aab6e
	v_cmp_ngt_f32_e64 s[0:1], 0, v9
	v_rcp_f32_e32 v11, v8
	v_fma_f32 v13, -v8, v11, 1.0
	v_fmac_f32_e32 v11, v13, v11
	v_mul_f32_e32 v13, v7, v11
	v_fma_f32 v14, -v8, v13, v7
	v_fmac_f32_e32 v13, v14, v11
	v_fma_f32 v7, -v8, v13, v7
	v_div_fmas_f32 v7, v7, v11, v13
	v_mul_f32_e64 v8, |v9|, s7
	v_rndne_f32_e32 v11, v8
	v_fma_f32 v13, |v9|, s7, -v8
	v_sub_f32_e32 v8, v8, v11
	v_fma_f32 v13, |v9|, s10, v13
	v_add_f32_e32 v8, v8, v13
	v_cvt_i32_f32_e32 v11, v11
	v_exp_f32_e32 v8, v8
	s_mov_b32 s7, 0xc2ce8ed0
	s_mov_b32 s10, 0x42b17218
	v_cmp_nlt_f32_e64 vcc, |v9|, s7
	v_ldexp_f32 v8, v8, v11
	v_mov_b32_e32 v13, 0x7f800000
	v_cndmask_b32_e32 v8, 0, v8, vcc
	v_cmp_ngt_f32_e64 vcc, |v9|, s10
	v_div_fixup_f32 v7, v7, |v9|, s6
	v_add_f32_e32 v7, -2.0, v7
	v_fmac_f32_e32 v10, 0x230aab6e, v7
	v_fmac_f32_e32 v12, v7, v10
	v_add_f32_e32 v11, 0xa456751e, v12
	v_fma_f32 v10, v7, v11, -v10
	v_add_f32_e32 v10, 0xa4140365, v10
	v_fma_f32 v11, v7, v10, -v11
	;; [unrolled: 2-line block ×22, first 2 shown]
	v_add_f32_e32 v7, 0x3f4750c6, v7
	v_cndmask_b32_e32 v8, v13, v8, vcc
	v_sub_f32_e32 v10, v7, v11
                                        ; implicit-def: $vgpr7
	s_and_saveexec_b64 s[6:7], s[0:1]
	s_xor_b64 s[6:7], exec, s[6:7]
	s_cbranch_execz .LBB19_1748
; %bb.1747:
	s_mov_b32 s0, 0xf800000
	s_mov_b32 s1, 0x4f800000
	v_mul_f32_e64 v7, |v9|, s1
	v_cmp_lt_f32_e64 vcc, |v9|, s0
	v_cndmask_b32_e64 v7, |v9|, v7, vcc
	v_sqrt_f32_e32 v9, v7
	v_mul_f32_e32 v10, 0.5, v10
	v_mul_f32_e32 v8, v8, v10
	v_add_u32_e32 v10, -1, v9
	v_fma_f32 v11, -v10, v9, v7
	v_cmp_ge_f32_e64 s[0:1], 0, v11
	v_add_u32_e32 v11, 1, v9
	v_cndmask_b32_e64 v10, v9, v10, s[0:1]
	v_fma_f32 v9, -v11, v9, v7
	v_cmp_lt_f32_e64 s[0:1], 0, v9
	v_cndmask_b32_e64 v9, v10, v11, s[0:1]
	v_mul_f32_e32 v10, 0x37800000, v9
	v_cndmask_b32_e32 v9, v9, v10, vcc
	v_mov_b32_e32 v10, 0x260
	v_cmp_class_f32_e32 vcc, v7, v10
	v_cndmask_b32_e32 v7, v9, v7, vcc
	v_div_scale_f32 v9, s[0:1], v7, v7, v8
	v_div_scale_f32 v10, vcc, v8, v7, v8
	v_rcp_f32_e32 v11, v9
	v_fma_f32 v12, -v9, v11, 1.0
	v_fmac_f32_e32 v11, v12, v11
	v_mul_f32_e32 v12, v10, v11
	v_fma_f32 v13, -v9, v12, v10
	v_fmac_f32_e32 v12, v13, v11
	v_fma_f32 v9, -v9, v12, v10
	v_div_fmas_f32 v9, v9, v11, v12
                                        ; implicit-def: $vgpr10
	v_div_fixup_f32 v7, v9, v7, v8
                                        ; implicit-def: $vgpr9
                                        ; implicit-def: $vgpr8
.LBB19_1748:
	s_andn2_saveexec_b64 s[6:7], s[6:7]
	s_cbranch_execz .LBB19_1750
; %bb.1749:
	s_mov_b32 s0, 0xf800000
	s_mov_b32 s1, 0x4f800000
	v_mul_f32_e64 v7, |v9|, s1
	v_cmp_lt_f32_e64 vcc, |v9|, s0
	v_cndmask_b32_e64 v7, |v9|, v7, vcc
	v_sqrt_f32_e32 v9, v7
	v_add_u32_e32 v11, -1, v9
	v_fma_f32 v12, -v11, v9, v7
	v_cmp_ge_f32_e64 s[0:1], 0, v12
	v_add_u32_e32 v12, 1, v9
	v_cndmask_b32_e64 v11, v9, v11, s[0:1]
	v_fma_f32 v9, -v12, v9, v7
	v_cmp_lt_f32_e64 s[0:1], 0, v9
	v_cndmask_b32_e64 v9, v11, v12, s[0:1]
	v_mul_f32_e32 v11, 0x37800000, v9
	v_cndmask_b32_e32 v9, v9, v11, vcc
	v_mov_b32_e32 v11, 0x260
	v_cmp_class_f32_e32 vcc, v7, v11
	v_cndmask_b32_e32 v7, v9, v7, vcc
	v_mul_f32_e32 v9, -0.5, v10
	v_mul_f32_e32 v8, v8, v9
	v_div_scale_f32 v9, s[0:1], v7, v7, v8
	v_div_scale_f32 v10, vcc, v8, v7, v8
	v_rcp_f32_e32 v11, v9
	v_fma_f32 v12, -v9, v11, 1.0
	v_fmac_f32_e32 v11, v12, v11
	v_mul_f32_e32 v12, v10, v11
	v_fma_f32 v13, -v9, v12, v10
	v_fmac_f32_e32 v12, v13, v11
	v_fma_f32 v9, -v9, v12, v10
	v_div_fmas_f32 v9, v9, v11, v12
	v_div_fixup_f32 v7, v9, v7, v8
.LBB19_1750:
	s_or_b64 exec, exec, s[6:7]
.LBB19_1751:
	s_or_b64 exec, exec, s[4:5]
	s_bfe_u32 s14, s16, 0x80008
	v_mov_b32_e32 v9, s9
	v_add_co_u32_e32 v8, vcc, s8, v6
	s_cmp_lt_i32 s14, 11
	v_addc_co_u32_e32 v9, vcc, 0, v9, vcc
	s_cbranch_scc1 .LBB19_1875
; %bb.1752:
	s_and_b32 s15, 0xffff, s14
	s_mov_b64 s[10:11], -1
	s_mov_b64 s[4:5], 0
	s_cmp_gt_i32 s15, 25
	s_mov_b64 s[6:7], 0
	s_mov_b64 s[0:1], 0
	s_cbranch_scc0 .LBB19_1785
; %bb.1753:
	s_cmp_gt_i32 s15, 28
	s_cbranch_scc0 .LBB19_1768
; %bb.1754:
	s_cmp_gt_i32 s15, 43
	;; [unrolled: 3-line block ×3, first 2 shown]
	s_cbranch_scc0 .LBB19_1758
; %bb.1756:
	s_mov_b64 s[0:1], -1
	s_mov_b64 s[10:11], 0
	s_cmp_eq_u32 s15, 46
	s_cbranch_scc0 .LBB19_1758
; %bb.1757:
	v_bfe_u32 v6, v5, 16, 1
	s_movk_i32 s0, 0x7fff
	v_add3_u32 v6, v5, v6, s0
	v_cmp_o_f32_e32 vcc, v5, v5
	v_mov_b32_e32 v10, 0x7fc0
	v_cndmask_b32_sdwa v6, v10, v6, vcc dst_sel:DWORD dst_unused:UNUSED_PAD src0_sel:DWORD src1_sel:WORD_1
	global_store_dword v[8:9], v6, off
	s_mov_b64 s[0:1], 0
	s_mov_b64 s[6:7], -1
.LBB19_1758:
	s_and_b64 vcc, exec, s[10:11]
	s_cbranch_vccz .LBB19_1763
; %bb.1759:
	s_cmp_eq_u32 s15, 44
	s_mov_b64 s[0:1], -1
	s_cbranch_scc0 .LBB19_1763
; %bb.1760:
	v_bfe_u32 v6, v5, 23, 8
	s_movk_i32 s0, 0xff
	v_cmp_ne_u32_e32 vcc, s0, v6
	v_mov_b32_e32 v10, 0xff
	s_and_saveexec_b64 s[6:7], vcc
; %bb.1761:
	s_mov_b32 s0, 0x3fffff
	v_and_b32_e32 v11, 0x400000, v5
	v_and_or_b32 v6, v5, s0, v6
	v_cmp_ne_u32_e32 vcc, 0, v11
	v_cmp_ne_u32_e64 s[0:1], 0, v6
	s_and_b64 s[0:1], vcc, s[0:1]
	v_lshrrev_b32_e32 v10, 23, v5
	v_cndmask_b32_e64 v6, 0, 1, s[0:1]
	v_add_u32_e32 v10, v10, v6
; %bb.1762:
	s_or_b64 exec, exec, s[6:7]
	s_mov_b64 s[0:1], 0
	s_mov_b64 s[6:7], -1
	global_store_byte v[8:9], v10, off
.LBB19_1763:
	s_mov_b64 s[10:11], 0
.LBB19_1764:
	s_and_b64 vcc, exec, s[10:11]
	s_cbranch_vccz .LBB19_1767
; %bb.1765:
	s_cmp_eq_u32 s15, 29
	s_mov_b64 s[0:1], -1
	s_cbranch_scc0 .LBB19_1767
; %bb.1766:
	v_trunc_f32_e32 v6, v5
	v_mul_f32_e32 v10, 0x2f800000, v6
	v_floor_f32_e32 v10, v10
	v_fmac_f32_e32 v6, 0xcf800000, v10
	v_cvt_u32_f32_e32 v11, v10
	v_cvt_u32_f32_e32 v10, v6
	s_mov_b64 s[0:1], 0
	s_mov_b64 s[6:7], -1
	global_store_dwordx2 v[8:9], v[10:11], off
.LBB19_1767:
	s_mov_b64 s[10:11], 0
.LBB19_1768:
	s_and_b64 vcc, exec, s[10:11]
	s_cbranch_vccz .LBB19_1784
; %bb.1769:
	s_cmp_lt_i32 s15, 27
	s_mov_b64 s[6:7], -1
	s_cbranch_scc1 .LBB19_1775
; %bb.1770:
	v_cvt_u32_f32_e32 v6, v5
	s_cmp_gt_i32 s15, 27
	s_cbranch_scc0 .LBB19_1772
; %bb.1771:
	s_mov_b64 s[6:7], 0
	global_store_dword v[8:9], v6, off
.LBB19_1772:
	s_andn2_b64 vcc, exec, s[6:7]
	s_cbranch_vccnz .LBB19_1774
; %bb.1773:
	global_store_short v[8:9], v6, off
.LBB19_1774:
	s_mov_b64 s[6:7], 0
.LBB19_1775:
	s_andn2_b64 vcc, exec, s[6:7]
	s_cbranch_vccnz .LBB19_1783
; %bb.1776:
	v_and_b32_e32 v6, 0x7fffffff, v5
	s_mov_b32 s6, 0x43800000
	v_cmp_gt_u32_e32 vcc, s6, v6
	v_mov_b32_e32 v10, 0x80
	s_and_saveexec_b64 s[6:7], vcc
	s_cbranch_execz .LBB19_1782
; %bb.1777:
	s_mov_b32 s10, 0x3bffffff
	v_cmp_lt_u32_e32 vcc, s10, v6
	s_mov_b64 s[10:11], 0
                                        ; implicit-def: $vgpr6
	s_and_saveexec_b64 s[12:13], vcc
	s_xor_b64 s[12:13], exec, s[12:13]
	s_cbranch_execz .LBB19_2233
; %bb.1778:
	v_bfe_u32 v6, v5, 20, 1
	s_mov_b32 s17, 0x487ffff
	v_add3_u32 v6, v5, v6, s17
	s_mov_b64 s[10:11], exec
	v_lshrrev_b32_e32 v6, 20, v6
	s_andn2_saveexec_b64 s[12:13], s[12:13]
	s_cbranch_execnz .LBB19_2234
.LBB19_1779:
	s_or_b64 exec, exec, s[12:13]
	v_mov_b32_e32 v10, 0
	s_and_saveexec_b64 s[12:13], s[10:11]
.LBB19_1780:
	v_lshrrev_b32_e32 v10, 24, v5
	s_movk_i32 s10, 0x80
	v_and_or_b32 v10, v10, s10, v6
.LBB19_1781:
	s_or_b64 exec, exec, s[12:13]
.LBB19_1782:
	s_or_b64 exec, exec, s[6:7]
	global_store_byte v[8:9], v10, off
.LBB19_1783:
	s_mov_b64 s[6:7], -1
.LBB19_1784:
	s_mov_b64 s[10:11], 0
.LBB19_1785:
	s_and_b64 vcc, exec, s[10:11]
	s_cbranch_vccz .LBB19_1825
; %bb.1786:
	s_cmp_gt_i32 s15, 22
	s_mov_b64 s[4:5], -1
	s_cbranch_scc0 .LBB19_1818
; %bb.1787:
	s_cmp_lt_i32 s15, 24
	s_cbranch_scc1 .LBB19_1807
; %bb.1788:
	s_cmp_gt_i32 s15, 24
	s_cbranch_scc0 .LBB19_1796
; %bb.1789:
	v_and_b32_e32 v6, 0x7fffffff, v5
	s_mov_b32 s4, 0x47800000
	v_cmp_gt_u32_e32 vcc, s4, v6
	v_mov_b32_e32 v10, 0x80
	s_and_saveexec_b64 s[4:5], vcc
	s_cbranch_execz .LBB19_1795
; %bb.1790:
	s_mov_b32 s6, 0x37ffffff
	v_cmp_lt_u32_e32 vcc, s6, v6
	s_mov_b64 s[6:7], 0
                                        ; implicit-def: $vgpr6
	s_and_saveexec_b64 s[10:11], vcc
	s_xor_b64 s[10:11], exec, s[10:11]
	s_cbranch_execz .LBB19_2236
; %bb.1791:
	v_bfe_u32 v6, v5, 21, 1
	s_mov_b32 s12, 0x88fffff
	v_add3_u32 v6, v5, v6, s12
	s_mov_b64 s[6:7], exec
	v_lshrrev_b32_e32 v6, 21, v6
	s_andn2_saveexec_b64 s[10:11], s[10:11]
	s_cbranch_execnz .LBB19_2237
.LBB19_1792:
	s_or_b64 exec, exec, s[10:11]
	v_mov_b32_e32 v10, 0
	s_and_saveexec_b64 s[10:11], s[6:7]
.LBB19_1793:
	v_lshrrev_b32_e32 v10, 24, v5
	s_movk_i32 s6, 0x80
	v_and_or_b32 v10, v10, s6, v6
.LBB19_1794:
	s_or_b64 exec, exec, s[10:11]
.LBB19_1795:
	s_or_b64 exec, exec, s[4:5]
	s_mov_b64 s[4:5], 0
	global_store_byte v[8:9], v10, off
.LBB19_1796:
	s_and_b64 vcc, exec, s[4:5]
	s_cbranch_vccz .LBB19_1806
; %bb.1797:
	v_and_b32_e32 v10, 0x7fffffff, v5
	s_mov_b32 s4, 0x43f00000
	v_cmp_gt_u32_e32 vcc, s4, v10
                                        ; implicit-def: $vgpr6
	s_and_saveexec_b64 s[4:5], vcc
	s_xor_b64 s[4:5], exec, s[4:5]
	s_cbranch_execz .LBB19_1803
; %bb.1798:
	s_mov_b32 s6, 0x3c7fffff
	v_cmp_lt_u32_e32 vcc, s6, v10
                                        ; implicit-def: $vgpr6
	s_and_saveexec_b64 s[6:7], vcc
	s_xor_b64 s[6:7], exec, s[6:7]
; %bb.1799:
	v_bfe_u32 v6, v5, 20, 1
	s_mov_b32 s10, 0x407ffff
	v_add3_u32 v6, v5, v6, s10
	v_lshrrev_b32_e32 v10, 20, v6
	v_and_b32_e32 v6, 0xff00000, v6
	s_mov_b32 s10, 0x7f00000
	v_mov_b32_e32 v11, 0x7e
	v_cmp_ne_u32_e32 vcc, s10, v6
	v_cndmask_b32_e32 v6, v11, v10, vcc
; %bb.1800:
	s_andn2_saveexec_b64 s[6:7], s[6:7]
; %bb.1801:
	s_mov_b32 s10, 0x46800000
	v_add_f32_e64 v6, |v5|, s10
; %bb.1802:
	s_or_b64 exec, exec, s[6:7]
                                        ; implicit-def: $vgpr10
.LBB19_1803:
	s_andn2_saveexec_b64 s[4:5], s[4:5]
; %bb.1804:
	s_mov_b32 s6, 0x7f800000
	v_mov_b32_e32 v6, 0x7e
	v_mov_b32_e32 v11, 0x7f
	v_cmp_lt_u32_e32 vcc, s6, v10
	v_cndmask_b32_e32 v6, v6, v11, vcc
; %bb.1805:
	s_or_b64 exec, exec, s[4:5]
	v_lshrrev_b32_e32 v10, 24, v5
	s_movk_i32 s4, 0x80
	v_and_or_b32 v6, v10, s4, v6
	global_store_byte v[8:9], v6, off
.LBB19_1806:
	s_mov_b64 s[4:5], 0
.LBB19_1807:
	s_andn2_b64 vcc, exec, s[4:5]
	s_cbranch_vccnz .LBB19_1817
; %bb.1808:
	v_and_b32_e32 v10, 0x7fffffff, v5
	s_mov_b32 s4, 0x47800000
	v_cmp_gt_u32_e32 vcc, s4, v10
                                        ; implicit-def: $vgpr6
	s_and_saveexec_b64 s[4:5], vcc
	s_xor_b64 s[4:5], exec, s[4:5]
	s_cbranch_execz .LBB19_1814
; %bb.1809:
	s_mov_b32 s6, 0x387fffff
	v_cmp_lt_u32_e32 vcc, s6, v10
                                        ; implicit-def: $vgpr6
	s_and_saveexec_b64 s[6:7], vcc
	s_xor_b64 s[6:7], exec, s[6:7]
; %bb.1810:
	v_bfe_u32 v6, v5, 21, 1
	s_mov_b32 s10, 0x80fffff
	v_add3_u32 v6, v5, v6, s10
	v_lshrrev_b32_e32 v6, 21, v6
; %bb.1811:
	s_andn2_saveexec_b64 s[6:7], s[6:7]
; %bb.1812:
	s_mov_b32 s10, 0x43000000
	v_add_f32_e64 v6, |v5|, s10
; %bb.1813:
	s_or_b64 exec, exec, s[6:7]
                                        ; implicit-def: $vgpr10
.LBB19_1814:
	s_andn2_saveexec_b64 s[4:5], s[4:5]
; %bb.1815:
	s_mov_b32 s6, 0x7f800000
	v_mov_b32_e32 v6, 0x7c
	v_mov_b32_e32 v11, 0x7f
	v_cmp_lt_u32_e32 vcc, s6, v10
	v_cndmask_b32_e32 v6, v6, v11, vcc
; %bb.1816:
	s_or_b64 exec, exec, s[4:5]
	v_lshrrev_b32_e32 v10, 24, v5
	s_movk_i32 s4, 0x80
	v_and_or_b32 v6, v10, s4, v6
	global_store_byte v[8:9], v6, off
.LBB19_1817:
	s_mov_b64 s[4:5], 0
	s_mov_b64 s[6:7], -1
.LBB19_1818:
	s_andn2_b64 vcc, exec, s[4:5]
	s_mov_b64 s[4:5], 0
	s_cbranch_vccnz .LBB19_1825
; %bb.1819:
	s_cmp_gt_i32 s15, 14
	s_mov_b64 s[10:11], -1
	s_cbranch_scc0 .LBB19_1823
; %bb.1820:
	s_cmp_eq_u32 s15, 15
	s_mov_b64 s[0:1], -1
	s_cbranch_scc0 .LBB19_1822
; %bb.1821:
	v_bfe_u32 v6, v5, 16, 1
	s_movk_i32 s0, 0x7fff
	v_add3_u32 v6, v5, v6, s0
	v_cmp_o_f32_e32 vcc, v5, v5
	v_mov_b32_e32 v10, 0x7fc0
	v_cndmask_b32_sdwa v6, v10, v6, vcc dst_sel:DWORD dst_unused:UNUSED_PAD src0_sel:DWORD src1_sel:WORD_1
	global_store_short v[8:9], v6, off
	s_mov_b64 s[0:1], 0
	s_mov_b64 s[6:7], -1
.LBB19_1822:
	s_mov_b64 s[10:11], 0
.LBB19_1823:
	s_and_b64 vcc, exec, s[10:11]
	s_cbranch_vccz .LBB19_1825
; %bb.1824:
	s_cmp_lg_u32 s15, 11
	s_mov_b64 s[4:5], -1
	s_cselect_b64 s[0:1], -1, 0
.LBB19_1825:
	s_and_b64 vcc, exec, s[0:1]
	s_cbranch_vccnz .LBB19_2235
; %bb.1826:
	s_andn2_b64 vcc, exec, s[4:5]
	s_cbranch_vccnz .LBB19_1828
.LBB19_1827:
	v_cmp_neq_f32_e32 vcc, 0, v5
	v_cndmask_b32_e64 v6, 0, 1, vcc
	s_mov_b64 s[6:7], -1
	global_store_byte v[8:9], v6, off
.LBB19_1828:
	s_mov_b64 s[0:1], 0
	s_branch .LBB19_1876
.LBB19_1829:
	s_mov_b64 s[0:1], 0
                                        ; implicit-def: $vgpr0_vgpr1
                                        ; implicit-def: $sgpr14
                                        ; implicit-def: $vgpr7
.LBB19_1830:
	s_mov_b64 s[4:5], 0
.LBB19_1831:
	s_and_b64 s[6:7], s[4:5], exec
	s_andn2_b64 s[4:5], s[28:29], exec
	s_and_b64 s[2:3], s[2:3], exec
	s_and_b64 s[0:1], s[0:1], exec
	s_or_b64 s[28:29], s[4:5], s[2:3]
.LBB19_1832:
	s_or_b64 exec, exec, s[30:31]
	s_and_saveexec_b64 s[2:3], s[28:29]
	s_cbranch_execz .LBB19_1835
; %bb.1833:
	; divergent unreachable
	s_or_b64 exec, exec, s[2:3]
	s_and_saveexec_b64 s[2:3], s[6:7]
	s_xor_b64 s[2:3], exec, s[2:3]
	s_cbranch_execnz .LBB19_1836
.LBB19_1834:
	s_or_b64 exec, exec, s[2:3]
	s_and_saveexec_b64 s[2:3], s[0:1]
	s_cbranch_execnz .LBB19_1837
	s_branch .LBB19_1874
.LBB19_1835:
	s_or_b64 exec, exec, s[2:3]
	s_and_saveexec_b64 s[2:3], s[6:7]
	s_xor_b64 s[2:3], exec, s[2:3]
	s_cbranch_execz .LBB19_1834
.LBB19_1836:
	v_cmp_neq_f32_e32 vcc, 0, v7
	v_cndmask_b32_e64 v2, 0, 1, vcc
	s_waitcnt vmcnt(0)
	global_store_byte v[0:1], v2, off
	s_or_b64 exec, exec, s[2:3]
	s_and_saveexec_b64 s[2:3], s[0:1]
	s_cbranch_execz .LBB19_1874
.LBB19_1837:
	s_sext_i32_i16 s2, s14
	s_cmp_lt_i32 s2, 5
	s_mov_b64 s[0:1], -1
	s_cbranch_scc1 .LBB19_1858
; %bb.1838:
	s_cmp_lt_i32 s2, 8
	s_cbranch_scc1 .LBB19_1848
; %bb.1839:
	s_cmp_lt_i32 s2, 9
	s_cbranch_scc1 .LBB19_1845
; %bb.1840:
	s_cmp_gt_i32 s2, 9
	s_cbranch_scc0 .LBB19_1842
; %bb.1841:
	s_waitcnt vmcnt(0)
	v_cvt_f64_f32_e32 v[2:3], v7
	v_mov_b32_e32 v4, 0
	v_mov_b32_e32 v5, v4
	s_mov_b64 s[0:1], 0
	global_store_dwordx4 v[0:1], v[2:5], off
.LBB19_1842:
	s_andn2_b64 vcc, exec, s[0:1]
	s_cbranch_vccnz .LBB19_1844
; %bb.1843:
	v_mov_b32_e32 v8, 0
	s_waitcnt vmcnt(0)
	global_store_dwordx2 v[0:1], v[7:8], off
.LBB19_1844:
	s_mov_b64 s[0:1], 0
.LBB19_1845:
	s_andn2_b64 vcc, exec, s[0:1]
	s_cbranch_vccnz .LBB19_1847
; %bb.1846:
	v_cvt_f16_f32_e32 v2, v7
	s_waitcnt vmcnt(0)
	global_store_dword v[0:1], v2, off
.LBB19_1847:
	s_mov_b64 s[0:1], 0
.LBB19_1848:
	s_andn2_b64 vcc, exec, s[0:1]
	s_cbranch_vccnz .LBB19_1857
; %bb.1849:
	s_sext_i32_i16 s2, s14
	s_cmp_lt_i32 s2, 6
	s_mov_b64 s[0:1], -1
	s_cbranch_scc1 .LBB19_1855
; %bb.1850:
	s_cmp_gt_i32 s2, 6
	s_cbranch_scc0 .LBB19_1852
; %bb.1851:
	s_waitcnt vmcnt(0)
	v_cvt_f64_f32_e32 v[2:3], v7
	s_mov_b64 s[0:1], 0
	global_store_dwordx2 v[0:1], v[2:3], off
.LBB19_1852:
	s_andn2_b64 vcc, exec, s[0:1]
	s_cbranch_vccnz .LBB19_1854
; %bb.1853:
	s_waitcnt vmcnt(0)
	global_store_dword v[0:1], v7, off
.LBB19_1854:
	s_mov_b64 s[0:1], 0
.LBB19_1855:
	s_andn2_b64 vcc, exec, s[0:1]
	s_cbranch_vccnz .LBB19_1857
; %bb.1856:
	v_cvt_f16_f32_e32 v2, v7
	s_waitcnt vmcnt(0)
	global_store_short v[0:1], v2, off
.LBB19_1857:
	s_mov_b64 s[0:1], 0
.LBB19_1858:
	s_andn2_b64 vcc, exec, s[0:1]
	s_cbranch_vccnz .LBB19_1874
; %bb.1859:
	s_sext_i32_i16 s2, s14
	s_cmp_lt_i32 s2, 2
	s_mov_b64 s[0:1], -1
	s_cbranch_scc1 .LBB19_1869
; %bb.1860:
	s_cmp_lt_i32 s2, 3
	s_cbranch_scc1 .LBB19_1866
; %bb.1861:
	s_cmp_gt_i32 s2, 3
	s_cbranch_scc0 .LBB19_1863
; %bb.1862:
	v_trunc_f32_e32 v2, v7
	s_mov_b32 s0, 0x2f800000
	s_waitcnt vmcnt(0)
	v_mul_f32_e64 v3, |v2|, s0
	v_floor_f32_e32 v3, v3
	s_mov_b32 s0, 0xcf800000
	v_cvt_u32_f32_e32 v4, v3
	v_fma_f32 v3, v3, s0, |v2|
	v_cvt_u32_f32_e32 v3, v3
	v_ashrrev_i32_e32 v5, 31, v2
	v_xor_b32_e32 v4, v4, v5
	s_mov_b64 s[0:1], 0
	v_xor_b32_e32 v2, v3, v5
	v_sub_co_u32_e32 v2, vcc, v2, v5
	v_subb_co_u32_e32 v3, vcc, v4, v5, vcc
	global_store_dwordx2 v[0:1], v[2:3], off
.LBB19_1863:
	s_andn2_b64 vcc, exec, s[0:1]
	s_cbranch_vccnz .LBB19_1865
; %bb.1864:
	v_cvt_i32_f32_e32 v2, v7
	s_waitcnt vmcnt(0)
	global_store_dword v[0:1], v2, off
.LBB19_1865:
	s_mov_b64 s[0:1], 0
.LBB19_1866:
	s_andn2_b64 vcc, exec, s[0:1]
	s_cbranch_vccnz .LBB19_1868
; %bb.1867:
	v_cvt_i32_f32_e32 v2, v7
	s_waitcnt vmcnt(0)
	global_store_short v[0:1], v2, off
.LBB19_1868:
	s_mov_b64 s[0:1], 0
.LBB19_1869:
	s_andn2_b64 vcc, exec, s[0:1]
	s_cbranch_vccnz .LBB19_1874
; %bb.1870:
	s_sext_i32_i16 s0, s14
	s_cmp_gt_i32 s0, 0
	s_mov_b64 s[0:1], -1
	s_cbranch_scc0 .LBB19_1872
; %bb.1871:
	v_cvt_i32_f32_e32 v2, v7
	s_mov_b64 s[0:1], 0
	s_waitcnt vmcnt(0)
	global_store_byte v[0:1], v2, off
.LBB19_1872:
	s_andn2_b64 vcc, exec, s[0:1]
	s_cbranch_vccnz .LBB19_1874
; %bb.1873:
	v_trunc_f32_e32 v2, v7
	s_mov_b32 s0, 0x2f800000
	s_waitcnt vmcnt(0)
	v_mul_f32_e64 v3, |v2|, s0
	v_floor_f32_e32 v3, v3
	s_mov_b32 s0, 0xcf800000
	v_fma_f32 v3, v3, s0, |v2|
	v_cvt_u32_f32_e32 v3, v3
	v_ashrrev_i32_e32 v2, 31, v2
	v_xor_b32_e32 v3, v3, v2
	v_sub_u32_e32 v2, v3, v2
	global_store_byte v[0:1], v2, off
	s_endpgm
.LBB19_1874:
	s_endpgm
.LBB19_1875:
	s_mov_b64 s[0:1], -1
	s_mov_b64 s[6:7], 0
.LBB19_1876:
	s_and_b64 vcc, exec, s[0:1]
	s_cbranch_vccz .LBB19_1915
; %bb.1877:
	s_and_b32 s4, 0xffff, s14
	s_cmp_lt_i32 s4, 5
	s_mov_b64 s[0:1], -1
	s_cbranch_scc1 .LBB19_1898
; %bb.1878:
	s_cmp_lt_i32 s4, 8
	s_cbranch_scc1 .LBB19_1888
; %bb.1879:
	s_cmp_lt_i32 s4, 9
	s_cbranch_scc1 .LBB19_1885
; %bb.1880:
	s_cmp_gt_i32 s4, 9
	s_cbranch_scc0 .LBB19_1882
; %bb.1881:
	v_cvt_f64_f32_e32 v[10:11], v5
	v_mov_b32_e32 v12, 0
	v_mov_b32_e32 v13, v12
	s_mov_b64 s[0:1], 0
	global_store_dwordx4 v[8:9], v[10:13], off
.LBB19_1882:
	s_andn2_b64 vcc, exec, s[0:1]
	s_cbranch_vccnz .LBB19_1884
; %bb.1883:
	v_mov_b32_e32 v6, 0
	global_store_dwordx2 v[8:9], v[5:6], off
.LBB19_1884:
	s_mov_b64 s[0:1], 0
.LBB19_1885:
	s_andn2_b64 vcc, exec, s[0:1]
	s_cbranch_vccnz .LBB19_1887
; %bb.1886:
	v_cvt_f16_f32_e32 v6, v5
	global_store_dword v[8:9], v6, off
.LBB19_1887:
	s_mov_b64 s[0:1], 0
.LBB19_1888:
	s_andn2_b64 vcc, exec, s[0:1]
	s_cbranch_vccnz .LBB19_1897
; %bb.1889:
	s_cmp_lt_i32 s4, 6
	s_mov_b64 s[0:1], -1
	s_cbranch_scc1 .LBB19_1895
; %bb.1890:
	s_cmp_gt_i32 s4, 6
	s_cbranch_scc0 .LBB19_1892
; %bb.1891:
	v_cvt_f64_f32_e32 v[10:11], v5
	s_mov_b64 s[0:1], 0
	global_store_dwordx2 v[8:9], v[10:11], off
.LBB19_1892:
	s_andn2_b64 vcc, exec, s[0:1]
	s_cbranch_vccnz .LBB19_1894
; %bb.1893:
	global_store_dword v[8:9], v5, off
.LBB19_1894:
	s_mov_b64 s[0:1], 0
.LBB19_1895:
	s_andn2_b64 vcc, exec, s[0:1]
	s_cbranch_vccnz .LBB19_1897
; %bb.1896:
	v_cvt_f16_f32_e32 v6, v5
	global_store_short v[8:9], v6, off
.LBB19_1897:
	s_mov_b64 s[0:1], 0
.LBB19_1898:
	s_andn2_b64 vcc, exec, s[0:1]
	s_cbranch_vccnz .LBB19_1914
; %bb.1899:
	s_cmp_lt_i32 s4, 2
	s_mov_b64 s[0:1], -1
	s_cbranch_scc1 .LBB19_1909
; %bb.1900:
	s_cmp_lt_i32 s4, 3
	s_cbranch_scc1 .LBB19_1906
; %bb.1901:
	s_cmp_gt_i32 s4, 3
	s_cbranch_scc0 .LBB19_1903
; %bb.1902:
	v_trunc_f32_e32 v6, v5
	s_mov_b32 s0, 0x2f800000
	v_mul_f32_e64 v10, |v6|, s0
	v_floor_f32_e32 v10, v10
	s_mov_b32 s0, 0xcf800000
	v_cvt_u32_f32_e32 v11, v10
	v_fma_f32 v10, v10, s0, |v6|
	v_cvt_u32_f32_e32 v10, v10
	v_ashrrev_i32_e32 v6, 31, v6
	v_xor_b32_e32 v11, v11, v6
	s_mov_b64 s[0:1], 0
	v_xor_b32_e32 v10, v10, v6
	v_sub_co_u32_e32 v10, vcc, v10, v6
	v_subb_co_u32_e32 v11, vcc, v11, v6, vcc
	global_store_dwordx2 v[8:9], v[10:11], off
.LBB19_1903:
	s_andn2_b64 vcc, exec, s[0:1]
	s_cbranch_vccnz .LBB19_1905
; %bb.1904:
	v_cvt_i32_f32_e32 v6, v5
	global_store_dword v[8:9], v6, off
.LBB19_1905:
	s_mov_b64 s[0:1], 0
.LBB19_1906:
	s_andn2_b64 vcc, exec, s[0:1]
	s_cbranch_vccnz .LBB19_1908
; %bb.1907:
	v_cvt_i32_f32_e32 v6, v5
	global_store_short v[8:9], v6, off
.LBB19_1908:
	s_mov_b64 s[0:1], 0
.LBB19_1909:
	s_andn2_b64 vcc, exec, s[0:1]
	s_cbranch_vccnz .LBB19_1914
; %bb.1910:
	s_cmp_gt_i32 s4, 0
	s_mov_b64 s[0:1], -1
	s_cbranch_scc0 .LBB19_1912
; %bb.1911:
	v_cvt_i32_f32_e32 v6, v5
	s_mov_b64 s[0:1], 0
	global_store_byte v[8:9], v6, off
.LBB19_1912:
	s_andn2_b64 vcc, exec, s[0:1]
	s_cbranch_vccnz .LBB19_1914
; %bb.1913:
	v_trunc_f32_e32 v5, v5
	s_mov_b32 s0, 0x2f800000
	v_mul_f32_e64 v6, |v5|, s0
	v_floor_f32_e32 v6, v6
	s_mov_b32 s0, 0xcf800000
	v_fma_f32 v6, v6, s0, |v5|
	v_cvt_u32_f32_e32 v6, v6
	v_ashrrev_i32_e32 v5, 31, v5
	v_xor_b32_e32 v6, v6, v5
	v_sub_u32_e32 v5, v6, v5
	global_store_byte v[8:9], v5, off
.LBB19_1914:
	s_mov_b64 s[6:7], -1
.LBB19_1915:
	s_andn2_b64 vcc, exec, s[6:7]
	s_cbranch_vccnz .LBB19_2230
; %bb.1916:
	s_lshr_b32 s0, s16, 8
	s_and_b32 s14, s0, 0xff
	v_mov_b32_e32 v6, s9
	v_add_co_u32_e32 v5, vcc, s8, v4
	s_cmp_lt_i32 s14, 11
	v_addc_co_u32_e32 v6, vcc, 0, v6, vcc
	s_cbranch_scc1 .LBB19_1994
; %bb.1917:
	s_and_b32 s15, 0xffff, s14
	s_mov_b64 s[10:11], -1
	s_mov_b64 s[4:5], 0
	s_cmp_gt_i32 s15, 25
	s_mov_b64 s[6:7], 0
	s_mov_b64 s[0:1], 0
	s_cbranch_scc0 .LBB19_1950
; %bb.1918:
	s_cmp_gt_i32 s15, 28
	s_cbranch_scc0 .LBB19_1933
; %bb.1919:
	s_cmp_gt_i32 s15, 43
	s_cbranch_scc0 .LBB19_1929
; %bb.1920:
	s_cmp_gt_i32 s15, 45
	s_cbranch_scc0 .LBB19_1923
; %bb.1921:
	s_mov_b64 s[0:1], -1
	s_mov_b64 s[10:11], 0
	s_cmp_eq_u32 s15, 46
	s_cbranch_scc0 .LBB19_1923
; %bb.1922:
	v_bfe_u32 v4, v3, 16, 1
	s_movk_i32 s0, 0x7fff
	v_add3_u32 v4, v3, v4, s0
	v_cmp_o_f32_e32 vcc, v3, v3
	v_mov_b32_e32 v8, 0x7fc0
	v_cndmask_b32_sdwa v4, v8, v4, vcc dst_sel:DWORD dst_unused:UNUSED_PAD src0_sel:DWORD src1_sel:WORD_1
	global_store_dword v[5:6], v4, off
	s_mov_b64 s[0:1], 0
	s_mov_b64 s[6:7], -1
.LBB19_1923:
	s_and_b64 vcc, exec, s[10:11]
	s_cbranch_vccz .LBB19_1928
; %bb.1924:
	s_cmp_eq_u32 s15, 44
	s_mov_b64 s[0:1], -1
	s_cbranch_scc0 .LBB19_1928
; %bb.1925:
	v_bfe_u32 v4, v3, 23, 8
	s_movk_i32 s0, 0xff
	v_cmp_ne_u32_e32 vcc, s0, v4
	v_mov_b32_e32 v8, 0xff
	s_and_saveexec_b64 s[6:7], vcc
; %bb.1926:
	s_mov_b32 s0, 0x3fffff
	v_and_b32_e32 v9, 0x400000, v3
	v_and_or_b32 v4, v3, s0, v4
	v_cmp_ne_u32_e32 vcc, 0, v9
	v_cmp_ne_u32_e64 s[0:1], 0, v4
	s_and_b64 s[0:1], vcc, s[0:1]
	v_lshrrev_b32_e32 v8, 23, v3
	v_cndmask_b32_e64 v4, 0, 1, s[0:1]
	v_add_u32_e32 v8, v8, v4
; %bb.1927:
	s_or_b64 exec, exec, s[6:7]
	s_mov_b64 s[0:1], 0
	s_mov_b64 s[6:7], -1
	global_store_byte v[5:6], v8, off
.LBB19_1928:
	s_mov_b64 s[10:11], 0
.LBB19_1929:
	s_and_b64 vcc, exec, s[10:11]
	s_cbranch_vccz .LBB19_1932
; %bb.1930:
	s_cmp_eq_u32 s15, 29
	s_mov_b64 s[0:1], -1
	s_cbranch_scc0 .LBB19_1932
; %bb.1931:
	v_trunc_f32_e32 v4, v3
	v_mul_f32_e32 v8, 0x2f800000, v4
	v_floor_f32_e32 v8, v8
	v_fmac_f32_e32 v4, 0xcf800000, v8
	v_cvt_u32_f32_e32 v9, v8
	v_cvt_u32_f32_e32 v8, v4
	s_mov_b64 s[0:1], 0
	s_mov_b64 s[6:7], -1
	global_store_dwordx2 v[5:6], v[8:9], off
.LBB19_1932:
	s_mov_b64 s[10:11], 0
.LBB19_1933:
	s_and_b64 vcc, exec, s[10:11]
	s_cbranch_vccz .LBB19_1949
; %bb.1934:
	s_cmp_lt_i32 s15, 27
	s_mov_b64 s[6:7], -1
	s_cbranch_scc1 .LBB19_1940
; %bb.1935:
	s_cmp_gt_i32 s15, 27
	s_cbranch_scc0 .LBB19_1937
; %bb.1936:
	v_cvt_u32_f32_e32 v4, v3
	s_mov_b64 s[6:7], 0
	global_store_dword v[5:6], v4, off
.LBB19_1937:
	s_andn2_b64 vcc, exec, s[6:7]
	s_cbranch_vccnz .LBB19_1939
; %bb.1938:
	v_cvt_u32_f32_e32 v4, v3
	global_store_short v[5:6], v4, off
.LBB19_1939:
	s_mov_b64 s[6:7], 0
.LBB19_1940:
	s_andn2_b64 vcc, exec, s[6:7]
	s_cbranch_vccnz .LBB19_1948
; %bb.1941:
	v_and_b32_e32 v4, 0x7fffffff, v3
	s_mov_b32 s6, 0x43800000
	v_cmp_gt_u32_e32 vcc, s6, v4
	v_mov_b32_e32 v8, 0x80
	s_and_saveexec_b64 s[6:7], vcc
	s_cbranch_execz .LBB19_1947
; %bb.1942:
	s_mov_b32 s10, 0x3bffffff
	v_cmp_lt_u32_e32 vcc, s10, v4
	s_mov_b64 s[10:11], 0
                                        ; implicit-def: $vgpr4
	s_and_saveexec_b64 s[12:13], vcc
	s_xor_b64 s[12:13], exec, s[12:13]
	s_cbranch_execz .LBB19_2238
; %bb.1943:
	v_bfe_u32 v4, v3, 20, 1
	s_mov_b32 s16, 0x487ffff
	v_add3_u32 v4, v3, v4, s16
	s_mov_b64 s[10:11], exec
	v_lshrrev_b32_e32 v4, 20, v4
	s_andn2_saveexec_b64 s[12:13], s[12:13]
	s_cbranch_execnz .LBB19_2239
.LBB19_1944:
	s_or_b64 exec, exec, s[12:13]
	v_mov_b32_e32 v8, 0
	s_and_saveexec_b64 s[12:13], s[10:11]
.LBB19_1945:
	v_lshrrev_b32_e32 v8, 24, v3
	s_movk_i32 s10, 0x80
	v_and_or_b32 v8, v8, s10, v4
.LBB19_1946:
	s_or_b64 exec, exec, s[12:13]
.LBB19_1947:
	s_or_b64 exec, exec, s[6:7]
	global_store_byte v[5:6], v8, off
.LBB19_1948:
	s_mov_b64 s[6:7], -1
.LBB19_1949:
	s_mov_b64 s[10:11], 0
.LBB19_1950:
	s_and_b64 vcc, exec, s[10:11]
	s_cbranch_vccz .LBB19_1990
; %bb.1951:
	s_cmp_gt_i32 s15, 22
	s_mov_b64 s[4:5], -1
	s_cbranch_scc0 .LBB19_1983
; %bb.1952:
	s_cmp_lt_i32 s15, 24
	s_cbranch_scc1 .LBB19_1972
; %bb.1953:
	s_cmp_gt_i32 s15, 24
	s_cbranch_scc0 .LBB19_1961
; %bb.1954:
	v_and_b32_e32 v4, 0x7fffffff, v3
	s_mov_b32 s4, 0x47800000
	v_cmp_gt_u32_e32 vcc, s4, v4
	v_mov_b32_e32 v8, 0x80
	s_and_saveexec_b64 s[4:5], vcc
	s_cbranch_execz .LBB19_1960
; %bb.1955:
	s_mov_b32 s6, 0x37ffffff
	v_cmp_lt_u32_e32 vcc, s6, v4
	s_mov_b64 s[6:7], 0
                                        ; implicit-def: $vgpr4
	s_and_saveexec_b64 s[10:11], vcc
	s_xor_b64 s[10:11], exec, s[10:11]
	s_cbranch_execz .LBB19_2241
; %bb.1956:
	v_bfe_u32 v4, v3, 21, 1
	s_mov_b32 s12, 0x88fffff
	v_add3_u32 v4, v3, v4, s12
	s_mov_b64 s[6:7], exec
	v_lshrrev_b32_e32 v4, 21, v4
	s_andn2_saveexec_b64 s[10:11], s[10:11]
	s_cbranch_execnz .LBB19_2242
.LBB19_1957:
	s_or_b64 exec, exec, s[10:11]
	v_mov_b32_e32 v8, 0
	s_and_saveexec_b64 s[10:11], s[6:7]
.LBB19_1958:
	v_lshrrev_b32_e32 v8, 24, v3
	s_movk_i32 s6, 0x80
	v_and_or_b32 v8, v8, s6, v4
.LBB19_1959:
	s_or_b64 exec, exec, s[10:11]
.LBB19_1960:
	s_or_b64 exec, exec, s[4:5]
	s_mov_b64 s[4:5], 0
	global_store_byte v[5:6], v8, off
.LBB19_1961:
	s_and_b64 vcc, exec, s[4:5]
	s_cbranch_vccz .LBB19_1971
; %bb.1962:
	v_and_b32_e32 v8, 0x7fffffff, v3
	s_mov_b32 s4, 0x43f00000
	v_cmp_gt_u32_e32 vcc, s4, v8
                                        ; implicit-def: $vgpr4
	s_and_saveexec_b64 s[4:5], vcc
	s_xor_b64 s[4:5], exec, s[4:5]
	s_cbranch_execz .LBB19_1968
; %bb.1963:
	s_mov_b32 s6, 0x3c7fffff
	v_cmp_lt_u32_e32 vcc, s6, v8
                                        ; implicit-def: $vgpr4
	s_and_saveexec_b64 s[6:7], vcc
	s_xor_b64 s[6:7], exec, s[6:7]
; %bb.1964:
	v_bfe_u32 v4, v3, 20, 1
	s_mov_b32 s10, 0x407ffff
	v_add3_u32 v4, v3, v4, s10
	v_lshrrev_b32_e32 v8, 20, v4
	v_and_b32_e32 v4, 0xff00000, v4
	s_mov_b32 s10, 0x7f00000
	v_mov_b32_e32 v9, 0x7e
	v_cmp_ne_u32_e32 vcc, s10, v4
	v_cndmask_b32_e32 v4, v9, v8, vcc
; %bb.1965:
	s_andn2_saveexec_b64 s[6:7], s[6:7]
; %bb.1966:
	s_mov_b32 s10, 0x46800000
	v_add_f32_e64 v4, |v3|, s10
; %bb.1967:
	s_or_b64 exec, exec, s[6:7]
                                        ; implicit-def: $vgpr8
.LBB19_1968:
	s_andn2_saveexec_b64 s[4:5], s[4:5]
; %bb.1969:
	s_mov_b32 s6, 0x7f800000
	v_mov_b32_e32 v4, 0x7e
	v_mov_b32_e32 v9, 0x7f
	v_cmp_lt_u32_e32 vcc, s6, v8
	v_cndmask_b32_e32 v4, v4, v9, vcc
; %bb.1970:
	s_or_b64 exec, exec, s[4:5]
	v_lshrrev_b32_e32 v8, 24, v3
	s_movk_i32 s4, 0x80
	v_and_or_b32 v4, v8, s4, v4
	global_store_byte v[5:6], v4, off
.LBB19_1971:
	s_mov_b64 s[4:5], 0
.LBB19_1972:
	s_andn2_b64 vcc, exec, s[4:5]
	s_cbranch_vccnz .LBB19_1982
; %bb.1973:
	v_and_b32_e32 v8, 0x7fffffff, v3
	s_mov_b32 s4, 0x47800000
	v_cmp_gt_u32_e32 vcc, s4, v8
                                        ; implicit-def: $vgpr4
	s_and_saveexec_b64 s[4:5], vcc
	s_xor_b64 s[4:5], exec, s[4:5]
	s_cbranch_execz .LBB19_1979
; %bb.1974:
	s_mov_b32 s6, 0x387fffff
	v_cmp_lt_u32_e32 vcc, s6, v8
                                        ; implicit-def: $vgpr4
	s_and_saveexec_b64 s[6:7], vcc
	s_xor_b64 s[6:7], exec, s[6:7]
; %bb.1975:
	v_bfe_u32 v4, v3, 21, 1
	s_mov_b32 s10, 0x80fffff
	v_add3_u32 v4, v3, v4, s10
	v_lshrrev_b32_e32 v4, 21, v4
; %bb.1976:
	s_andn2_saveexec_b64 s[6:7], s[6:7]
; %bb.1977:
	s_mov_b32 s10, 0x43000000
	v_add_f32_e64 v4, |v3|, s10
; %bb.1978:
	s_or_b64 exec, exec, s[6:7]
                                        ; implicit-def: $vgpr8
.LBB19_1979:
	s_andn2_saveexec_b64 s[4:5], s[4:5]
; %bb.1980:
	s_mov_b32 s6, 0x7f800000
	v_mov_b32_e32 v4, 0x7c
	v_mov_b32_e32 v9, 0x7f
	v_cmp_lt_u32_e32 vcc, s6, v8
	v_cndmask_b32_e32 v4, v4, v9, vcc
; %bb.1981:
	s_or_b64 exec, exec, s[4:5]
	v_lshrrev_b32_e32 v8, 24, v3
	s_movk_i32 s4, 0x80
	v_and_or_b32 v4, v8, s4, v4
	global_store_byte v[5:6], v4, off
.LBB19_1982:
	s_mov_b64 s[4:5], 0
	s_mov_b64 s[6:7], -1
.LBB19_1983:
	s_andn2_b64 vcc, exec, s[4:5]
	s_mov_b64 s[4:5], 0
	s_cbranch_vccnz .LBB19_1990
; %bb.1984:
	s_cmp_gt_i32 s15, 14
	s_mov_b64 s[10:11], -1
	s_cbranch_scc0 .LBB19_1988
; %bb.1985:
	s_cmp_eq_u32 s15, 15
	s_mov_b64 s[0:1], -1
	s_cbranch_scc0 .LBB19_1987
; %bb.1986:
	v_bfe_u32 v4, v3, 16, 1
	s_movk_i32 s0, 0x7fff
	v_add3_u32 v4, v3, v4, s0
	v_cmp_o_f32_e32 vcc, v3, v3
	v_mov_b32_e32 v8, 0x7fc0
	v_cndmask_b32_sdwa v4, v8, v4, vcc dst_sel:DWORD dst_unused:UNUSED_PAD src0_sel:DWORD src1_sel:WORD_1
	global_store_short v[5:6], v4, off
	s_mov_b64 s[0:1], 0
	s_mov_b64 s[6:7], -1
.LBB19_1987:
	s_mov_b64 s[10:11], 0
.LBB19_1988:
	s_and_b64 vcc, exec, s[10:11]
	s_cbranch_vccz .LBB19_1990
; %bb.1989:
	s_cmp_lg_u32 s15, 11
	s_mov_b64 s[4:5], -1
	s_cselect_b64 s[0:1], -1, 0
.LBB19_1990:
	s_and_b64 vcc, exec, s[0:1]
	s_cbranch_vccnz .LBB19_2240
; %bb.1991:
	s_andn2_b64 vcc, exec, s[4:5]
	s_cbranch_vccnz .LBB19_1993
.LBB19_1992:
	v_cmp_neq_f32_e32 vcc, 0, v3
	v_cndmask_b32_e64 v4, 0, 1, vcc
	s_mov_b64 s[6:7], -1
	global_store_byte v[5:6], v4, off
.LBB19_1993:
	s_mov_b64 s[0:1], 0
	s_branch .LBB19_1995
.LBB19_1994:
	s_mov_b64 s[0:1], -1
	s_mov_b64 s[6:7], 0
.LBB19_1995:
	s_and_b64 vcc, exec, s[0:1]
	s_cbranch_vccz .LBB19_2034
; %bb.1996:
	s_and_b32 s4, 0xffff, s14
	s_cmp_lt_i32 s4, 5
	s_mov_b64 s[0:1], -1
	s_cbranch_scc1 .LBB19_2017
; %bb.1997:
	s_cmp_lt_i32 s4, 8
	s_cbranch_scc1 .LBB19_2007
; %bb.1998:
	s_cmp_lt_i32 s4, 9
	s_cbranch_scc1 .LBB19_2004
; %bb.1999:
	s_cmp_gt_i32 s4, 9
	s_cbranch_scc0 .LBB19_2001
; %bb.2000:
	v_cvt_f64_f32_e32 v[8:9], v3
	v_mov_b32_e32 v10, 0
	v_mov_b32_e32 v11, v10
	s_mov_b64 s[0:1], 0
	global_store_dwordx4 v[5:6], v[8:11], off
.LBB19_2001:
	s_andn2_b64 vcc, exec, s[0:1]
	s_cbranch_vccnz .LBB19_2003
; %bb.2002:
	v_mov_b32_e32 v4, 0
	global_store_dwordx2 v[5:6], v[3:4], off
.LBB19_2003:
	s_mov_b64 s[0:1], 0
.LBB19_2004:
	s_andn2_b64 vcc, exec, s[0:1]
	s_cbranch_vccnz .LBB19_2006
; %bb.2005:
	v_cvt_f16_f32_e32 v4, v3
	global_store_dword v[5:6], v4, off
.LBB19_2006:
	s_mov_b64 s[0:1], 0
.LBB19_2007:
	s_andn2_b64 vcc, exec, s[0:1]
	s_cbranch_vccnz .LBB19_2016
; %bb.2008:
	s_cmp_lt_i32 s4, 6
	s_mov_b64 s[0:1], -1
	s_cbranch_scc1 .LBB19_2014
; %bb.2009:
	s_cmp_gt_i32 s4, 6
	s_cbranch_scc0 .LBB19_2011
; %bb.2010:
	v_cvt_f64_f32_e32 v[8:9], v3
	s_mov_b64 s[0:1], 0
	global_store_dwordx2 v[5:6], v[8:9], off
.LBB19_2011:
	s_andn2_b64 vcc, exec, s[0:1]
	s_cbranch_vccnz .LBB19_2013
; %bb.2012:
	global_store_dword v[5:6], v3, off
.LBB19_2013:
	s_mov_b64 s[0:1], 0
.LBB19_2014:
	s_andn2_b64 vcc, exec, s[0:1]
	s_cbranch_vccnz .LBB19_2016
; %bb.2015:
	v_cvt_f16_f32_e32 v4, v3
	global_store_short v[5:6], v4, off
.LBB19_2016:
	s_mov_b64 s[0:1], 0
.LBB19_2017:
	s_andn2_b64 vcc, exec, s[0:1]
	s_cbranch_vccnz .LBB19_2033
; %bb.2018:
	s_cmp_lt_i32 s4, 2
	s_mov_b64 s[0:1], -1
	s_cbranch_scc1 .LBB19_2028
; %bb.2019:
	s_cmp_lt_i32 s4, 3
	s_cbranch_scc1 .LBB19_2025
; %bb.2020:
	s_cmp_gt_i32 s4, 3
	s_cbranch_scc0 .LBB19_2022
; %bb.2021:
	v_trunc_f32_e32 v4, v3
	s_mov_b32 s0, 0x2f800000
	v_mul_f32_e64 v8, |v4|, s0
	v_floor_f32_e32 v8, v8
	s_mov_b32 s0, 0xcf800000
	v_cvt_u32_f32_e32 v9, v8
	v_fma_f32 v8, v8, s0, |v4|
	v_cvt_u32_f32_e32 v8, v8
	v_ashrrev_i32_e32 v4, 31, v4
	v_xor_b32_e32 v9, v9, v4
	s_mov_b64 s[0:1], 0
	v_xor_b32_e32 v8, v8, v4
	v_sub_co_u32_e32 v8, vcc, v8, v4
	v_subb_co_u32_e32 v9, vcc, v9, v4, vcc
	global_store_dwordx2 v[5:6], v[8:9], off
.LBB19_2022:
	s_andn2_b64 vcc, exec, s[0:1]
	s_cbranch_vccnz .LBB19_2024
; %bb.2023:
	v_cvt_i32_f32_e32 v4, v3
	global_store_dword v[5:6], v4, off
.LBB19_2024:
	s_mov_b64 s[0:1], 0
.LBB19_2025:
	s_andn2_b64 vcc, exec, s[0:1]
	s_cbranch_vccnz .LBB19_2027
; %bb.2026:
	v_cvt_i32_f32_e32 v4, v3
	global_store_short v[5:6], v4, off
.LBB19_2027:
	s_mov_b64 s[0:1], 0
.LBB19_2028:
	s_andn2_b64 vcc, exec, s[0:1]
	s_cbranch_vccnz .LBB19_2033
; %bb.2029:
	s_cmp_gt_i32 s4, 0
	s_mov_b64 s[0:1], -1
	s_cbranch_scc0 .LBB19_2031
; %bb.2030:
	v_cvt_i32_f32_e32 v4, v3
	s_mov_b64 s[0:1], 0
	global_store_byte v[5:6], v4, off
.LBB19_2031:
	s_andn2_b64 vcc, exec, s[0:1]
	s_cbranch_vccnz .LBB19_2033
; %bb.2032:
	v_trunc_f32_e32 v3, v3
	s_mov_b32 s0, 0x2f800000
	v_mul_f32_e64 v4, |v3|, s0
	v_floor_f32_e32 v4, v4
	s_mov_b32 s0, 0xcf800000
	v_fma_f32 v4, v4, s0, |v3|
	v_cvt_u32_f32_e32 v4, v4
	v_ashrrev_i32_e32 v3, 31, v3
	v_xor_b32_e32 v4, v4, v3
	v_sub_u32_e32 v3, v4, v3
	global_store_byte v[5:6], v3, off
.LBB19_2033:
	s_mov_b64 s[6:7], -1
.LBB19_2034:
	s_andn2_b64 vcc, exec, s[6:7]
	s_cbranch_vccnz .LBB19_2230
; %bb.2035:
	v_mov_b32_e32 v4, s9
	v_add_co_u32_e32 v3, vcc, s8, v2
	s_cmp_lt_i32 s14, 11
	v_addc_co_u32_e32 v4, vcc, 0, v4, vcc
	s_cbranch_scc1 .LBB19_2113
; %bb.2036:
	s_and_b32 s15, 0xffff, s14
	s_mov_b64 s[10:11], -1
	s_mov_b64 s[4:5], 0
	s_cmp_gt_i32 s15, 25
	s_mov_b64 s[6:7], 0
	s_mov_b64 s[0:1], 0
	s_cbranch_scc0 .LBB19_2069
; %bb.2037:
	s_cmp_gt_i32 s15, 28
	s_cbranch_scc0 .LBB19_2052
; %bb.2038:
	s_cmp_gt_i32 s15, 43
	;; [unrolled: 3-line block ×3, first 2 shown]
	s_cbranch_scc0 .LBB19_2042
; %bb.2040:
	s_mov_b64 s[0:1], -1
	s_mov_b64 s[10:11], 0
	s_cmp_eq_u32 s15, 46
	s_cbranch_scc0 .LBB19_2042
; %bb.2041:
	v_bfe_u32 v2, v1, 16, 1
	s_movk_i32 s0, 0x7fff
	v_add3_u32 v2, v1, v2, s0
	v_cmp_o_f32_e32 vcc, v1, v1
	v_mov_b32_e32 v5, 0x7fc0
	v_cndmask_b32_sdwa v2, v5, v2, vcc dst_sel:DWORD dst_unused:UNUSED_PAD src0_sel:DWORD src1_sel:WORD_1
	global_store_dword v[3:4], v2, off
	s_mov_b64 s[0:1], 0
	s_mov_b64 s[6:7], -1
.LBB19_2042:
	s_and_b64 vcc, exec, s[10:11]
	s_cbranch_vccz .LBB19_2047
; %bb.2043:
	s_cmp_eq_u32 s15, 44
	s_mov_b64 s[0:1], -1
	s_cbranch_scc0 .LBB19_2047
; %bb.2044:
	v_bfe_u32 v2, v1, 23, 8
	s_movk_i32 s0, 0xff
	v_cmp_ne_u32_e32 vcc, s0, v2
	v_mov_b32_e32 v5, 0xff
	s_and_saveexec_b64 s[6:7], vcc
; %bb.2045:
	s_mov_b32 s0, 0x3fffff
	v_and_b32_e32 v6, 0x400000, v1
	v_and_or_b32 v2, v1, s0, v2
	v_cmp_ne_u32_e32 vcc, 0, v6
	v_cmp_ne_u32_e64 s[0:1], 0, v2
	s_and_b64 s[0:1], vcc, s[0:1]
	v_lshrrev_b32_e32 v5, 23, v1
	v_cndmask_b32_e64 v2, 0, 1, s[0:1]
	v_add_u32_e32 v5, v5, v2
; %bb.2046:
	s_or_b64 exec, exec, s[6:7]
	s_mov_b64 s[0:1], 0
	s_mov_b64 s[6:7], -1
	global_store_byte v[3:4], v5, off
.LBB19_2047:
	s_mov_b64 s[10:11], 0
.LBB19_2048:
	s_and_b64 vcc, exec, s[10:11]
	s_cbranch_vccz .LBB19_2051
; %bb.2049:
	s_cmp_eq_u32 s15, 29
	s_mov_b64 s[0:1], -1
	s_cbranch_scc0 .LBB19_2051
; %bb.2050:
	v_trunc_f32_e32 v2, v1
	v_mul_f32_e32 v5, 0x2f800000, v2
	v_floor_f32_e32 v5, v5
	v_fmac_f32_e32 v2, 0xcf800000, v5
	v_cvt_u32_f32_e32 v6, v5
	v_cvt_u32_f32_e32 v5, v2
	s_mov_b64 s[0:1], 0
	s_mov_b64 s[6:7], -1
	global_store_dwordx2 v[3:4], v[5:6], off
.LBB19_2051:
	s_mov_b64 s[10:11], 0
.LBB19_2052:
	s_and_b64 vcc, exec, s[10:11]
	s_cbranch_vccz .LBB19_2068
; %bb.2053:
	s_cmp_lt_i32 s15, 27
	s_mov_b64 s[6:7], -1
	s_cbranch_scc1 .LBB19_2059
; %bb.2054:
	v_cvt_u32_f32_e32 v2, v1
	s_cmp_gt_i32 s15, 27
	s_cbranch_scc0 .LBB19_2056
; %bb.2055:
	s_mov_b64 s[6:7], 0
	global_store_dword v[3:4], v2, off
.LBB19_2056:
	s_andn2_b64 vcc, exec, s[6:7]
	s_cbranch_vccnz .LBB19_2058
; %bb.2057:
	global_store_short v[3:4], v2, off
.LBB19_2058:
	s_mov_b64 s[6:7], 0
.LBB19_2059:
	s_andn2_b64 vcc, exec, s[6:7]
	s_cbranch_vccnz .LBB19_2067
; %bb.2060:
	v_and_b32_e32 v2, 0x7fffffff, v1
	s_mov_b32 s6, 0x43800000
	v_cmp_gt_u32_e32 vcc, s6, v2
	v_mov_b32_e32 v5, 0x80
	s_and_saveexec_b64 s[6:7], vcc
	s_cbranch_execz .LBB19_2066
; %bb.2061:
	s_mov_b32 s10, 0x3bffffff
	v_cmp_lt_u32_e32 vcc, s10, v2
	s_mov_b64 s[10:11], 0
                                        ; implicit-def: $vgpr2
	s_and_saveexec_b64 s[12:13], vcc
	s_xor_b64 s[12:13], exec, s[12:13]
	s_cbranch_execz .LBB19_2243
; %bb.2062:
	v_bfe_u32 v2, v1, 20, 1
	s_mov_b32 s16, 0x487ffff
	v_add3_u32 v2, v1, v2, s16
	s_mov_b64 s[10:11], exec
	v_lshrrev_b32_e32 v2, 20, v2
	s_andn2_saveexec_b64 s[12:13], s[12:13]
	s_cbranch_execnz .LBB19_2244
.LBB19_2063:
	s_or_b64 exec, exec, s[12:13]
	v_mov_b32_e32 v5, 0
	s_and_saveexec_b64 s[12:13], s[10:11]
.LBB19_2064:
	v_lshrrev_b32_e32 v5, 24, v1
	s_movk_i32 s10, 0x80
	v_and_or_b32 v5, v5, s10, v2
.LBB19_2065:
	s_or_b64 exec, exec, s[12:13]
.LBB19_2066:
	s_or_b64 exec, exec, s[6:7]
	global_store_byte v[3:4], v5, off
.LBB19_2067:
	s_mov_b64 s[6:7], -1
.LBB19_2068:
	s_mov_b64 s[10:11], 0
.LBB19_2069:
	s_and_b64 vcc, exec, s[10:11]
	s_cbranch_vccz .LBB19_2109
; %bb.2070:
	s_cmp_gt_i32 s15, 22
	s_mov_b64 s[4:5], -1
	s_cbranch_scc0 .LBB19_2102
; %bb.2071:
	s_cmp_lt_i32 s15, 24
	s_cbranch_scc1 .LBB19_2091
; %bb.2072:
	s_cmp_gt_i32 s15, 24
	s_cbranch_scc0 .LBB19_2080
; %bb.2073:
	v_and_b32_e32 v2, 0x7fffffff, v1
	s_mov_b32 s4, 0x47800000
	v_cmp_gt_u32_e32 vcc, s4, v2
	v_mov_b32_e32 v5, 0x80
	s_and_saveexec_b64 s[4:5], vcc
	s_cbranch_execz .LBB19_2079
; %bb.2074:
	s_mov_b32 s6, 0x37ffffff
	v_cmp_lt_u32_e32 vcc, s6, v2
	s_mov_b64 s[6:7], 0
                                        ; implicit-def: $vgpr2
	s_and_saveexec_b64 s[10:11], vcc
	s_xor_b64 s[10:11], exec, s[10:11]
	s_cbranch_execz .LBB19_2246
; %bb.2075:
	v_bfe_u32 v2, v1, 21, 1
	s_mov_b32 s12, 0x88fffff
	v_add3_u32 v2, v1, v2, s12
	s_mov_b64 s[6:7], exec
	v_lshrrev_b32_e32 v2, 21, v2
	s_andn2_saveexec_b64 s[10:11], s[10:11]
	s_cbranch_execnz .LBB19_2247
.LBB19_2076:
	s_or_b64 exec, exec, s[10:11]
	v_mov_b32_e32 v5, 0
	s_and_saveexec_b64 s[10:11], s[6:7]
.LBB19_2077:
	v_lshrrev_b32_e32 v5, 24, v1
	s_movk_i32 s6, 0x80
	v_and_or_b32 v5, v5, s6, v2
.LBB19_2078:
	s_or_b64 exec, exec, s[10:11]
.LBB19_2079:
	s_or_b64 exec, exec, s[4:5]
	s_mov_b64 s[4:5], 0
	global_store_byte v[3:4], v5, off
.LBB19_2080:
	s_and_b64 vcc, exec, s[4:5]
	s_cbranch_vccz .LBB19_2090
; %bb.2081:
	v_and_b32_e32 v5, 0x7fffffff, v1
	s_mov_b32 s4, 0x43f00000
	v_cmp_gt_u32_e32 vcc, s4, v5
                                        ; implicit-def: $vgpr2
	s_and_saveexec_b64 s[4:5], vcc
	s_xor_b64 s[4:5], exec, s[4:5]
	s_cbranch_execz .LBB19_2087
; %bb.2082:
	s_mov_b32 s6, 0x3c7fffff
	v_cmp_lt_u32_e32 vcc, s6, v5
                                        ; implicit-def: $vgpr2
	s_and_saveexec_b64 s[6:7], vcc
	s_xor_b64 s[6:7], exec, s[6:7]
; %bb.2083:
	v_bfe_u32 v2, v1, 20, 1
	s_mov_b32 s10, 0x407ffff
	v_add3_u32 v2, v1, v2, s10
	v_lshrrev_b32_e32 v5, 20, v2
	v_and_b32_e32 v2, 0xff00000, v2
	s_mov_b32 s10, 0x7f00000
	v_mov_b32_e32 v6, 0x7e
	v_cmp_ne_u32_e32 vcc, s10, v2
	v_cndmask_b32_e32 v2, v6, v5, vcc
; %bb.2084:
	s_andn2_saveexec_b64 s[6:7], s[6:7]
; %bb.2085:
	s_mov_b32 s10, 0x46800000
	v_add_f32_e64 v2, |v1|, s10
; %bb.2086:
	s_or_b64 exec, exec, s[6:7]
                                        ; implicit-def: $vgpr5
.LBB19_2087:
	s_andn2_saveexec_b64 s[4:5], s[4:5]
; %bb.2088:
	s_mov_b32 s6, 0x7f800000
	v_mov_b32_e32 v2, 0x7e
	v_mov_b32_e32 v6, 0x7f
	v_cmp_lt_u32_e32 vcc, s6, v5
	v_cndmask_b32_e32 v2, v2, v6, vcc
; %bb.2089:
	s_or_b64 exec, exec, s[4:5]
	v_lshrrev_b32_e32 v5, 24, v1
	s_movk_i32 s4, 0x80
	v_and_or_b32 v2, v5, s4, v2
	global_store_byte v[3:4], v2, off
.LBB19_2090:
	s_mov_b64 s[4:5], 0
.LBB19_2091:
	s_andn2_b64 vcc, exec, s[4:5]
	s_cbranch_vccnz .LBB19_2101
; %bb.2092:
	v_and_b32_e32 v5, 0x7fffffff, v1
	s_mov_b32 s4, 0x47800000
	v_cmp_gt_u32_e32 vcc, s4, v5
                                        ; implicit-def: $vgpr2
	s_and_saveexec_b64 s[4:5], vcc
	s_xor_b64 s[4:5], exec, s[4:5]
	s_cbranch_execz .LBB19_2098
; %bb.2093:
	s_mov_b32 s6, 0x387fffff
	v_cmp_lt_u32_e32 vcc, s6, v5
                                        ; implicit-def: $vgpr2
	s_and_saveexec_b64 s[6:7], vcc
	s_xor_b64 s[6:7], exec, s[6:7]
; %bb.2094:
	v_bfe_u32 v2, v1, 21, 1
	s_mov_b32 s10, 0x80fffff
	v_add3_u32 v2, v1, v2, s10
	v_lshrrev_b32_e32 v2, 21, v2
; %bb.2095:
	s_andn2_saveexec_b64 s[6:7], s[6:7]
; %bb.2096:
	s_mov_b32 s10, 0x43000000
	v_add_f32_e64 v2, |v1|, s10
; %bb.2097:
	s_or_b64 exec, exec, s[6:7]
                                        ; implicit-def: $vgpr5
.LBB19_2098:
	s_andn2_saveexec_b64 s[4:5], s[4:5]
; %bb.2099:
	s_mov_b32 s6, 0x7f800000
	v_mov_b32_e32 v2, 0x7c
	v_mov_b32_e32 v6, 0x7f
	v_cmp_lt_u32_e32 vcc, s6, v5
	v_cndmask_b32_e32 v2, v2, v6, vcc
; %bb.2100:
	s_or_b64 exec, exec, s[4:5]
	v_lshrrev_b32_e32 v5, 24, v1
	s_movk_i32 s4, 0x80
	v_and_or_b32 v2, v5, s4, v2
	global_store_byte v[3:4], v2, off
.LBB19_2101:
	s_mov_b64 s[4:5], 0
	s_mov_b64 s[6:7], -1
.LBB19_2102:
	s_andn2_b64 vcc, exec, s[4:5]
	s_mov_b64 s[4:5], 0
	s_cbranch_vccnz .LBB19_2109
; %bb.2103:
	s_cmp_gt_i32 s15, 14
	s_mov_b64 s[10:11], -1
	s_cbranch_scc0 .LBB19_2107
; %bb.2104:
	s_cmp_eq_u32 s15, 15
	s_mov_b64 s[0:1], -1
	s_cbranch_scc0 .LBB19_2106
; %bb.2105:
	v_bfe_u32 v2, v1, 16, 1
	s_movk_i32 s0, 0x7fff
	v_add3_u32 v2, v1, v2, s0
	v_cmp_o_f32_e32 vcc, v1, v1
	v_mov_b32_e32 v5, 0x7fc0
	v_cndmask_b32_sdwa v2, v5, v2, vcc dst_sel:DWORD dst_unused:UNUSED_PAD src0_sel:DWORD src1_sel:WORD_1
	global_store_short v[3:4], v2, off
	s_mov_b64 s[0:1], 0
	s_mov_b64 s[6:7], -1
.LBB19_2106:
	s_mov_b64 s[10:11], 0
.LBB19_2107:
	s_and_b64 vcc, exec, s[10:11]
	s_cbranch_vccz .LBB19_2109
; %bb.2108:
	s_cmp_lg_u32 s15, 11
	s_mov_b64 s[4:5], -1
	s_cselect_b64 s[0:1], -1, 0
.LBB19_2109:
	s_and_b64 vcc, exec, s[0:1]
	s_cbranch_vccnz .LBB19_2245
; %bb.2110:
	s_andn2_b64 vcc, exec, s[4:5]
	s_cbranch_vccnz .LBB19_2112
.LBB19_2111:
	v_cmp_neq_f32_e32 vcc, 0, v1
	v_cndmask_b32_e64 v2, 0, 1, vcc
	s_mov_b64 s[6:7], -1
	global_store_byte v[3:4], v2, off
.LBB19_2112:
	s_mov_b64 s[0:1], 0
	s_branch .LBB19_2114
.LBB19_2113:
	s_mov_b64 s[0:1], -1
	s_mov_b64 s[6:7], 0
.LBB19_2114:
	s_and_b64 vcc, exec, s[0:1]
	s_cbranch_vccz .LBB19_2153
; %bb.2115:
	s_and_b32 s4, 0xffff, s14
	s_cmp_lt_i32 s4, 5
	s_mov_b64 s[0:1], -1
	s_cbranch_scc1 .LBB19_2136
; %bb.2116:
	s_cmp_lt_i32 s4, 8
	s_cbranch_scc1 .LBB19_2126
; %bb.2117:
	s_cmp_lt_i32 s4, 9
	s_cbranch_scc1 .LBB19_2123
; %bb.2118:
	s_cmp_gt_i32 s4, 9
	s_cbranch_scc0 .LBB19_2120
; %bb.2119:
	v_cvt_f64_f32_e32 v[8:9], v1
	v_mov_b32_e32 v10, 0
	v_mov_b32_e32 v11, v10
	s_mov_b64 s[0:1], 0
	global_store_dwordx4 v[3:4], v[8:11], off
.LBB19_2120:
	s_andn2_b64 vcc, exec, s[0:1]
	s_cbranch_vccnz .LBB19_2122
; %bb.2121:
	v_mov_b32_e32 v2, 0
	global_store_dwordx2 v[3:4], v[1:2], off
.LBB19_2122:
	s_mov_b64 s[0:1], 0
.LBB19_2123:
	s_andn2_b64 vcc, exec, s[0:1]
	s_cbranch_vccnz .LBB19_2125
; %bb.2124:
	v_cvt_f16_f32_e32 v2, v1
	global_store_dword v[3:4], v2, off
.LBB19_2125:
	s_mov_b64 s[0:1], 0
.LBB19_2126:
	s_andn2_b64 vcc, exec, s[0:1]
	s_cbranch_vccnz .LBB19_2135
; %bb.2127:
	s_cmp_lt_i32 s4, 6
	s_mov_b64 s[0:1], -1
	s_cbranch_scc1 .LBB19_2133
; %bb.2128:
	s_cmp_gt_i32 s4, 6
	s_cbranch_scc0 .LBB19_2130
; %bb.2129:
	v_cvt_f64_f32_e32 v[5:6], v1
	s_mov_b64 s[0:1], 0
	global_store_dwordx2 v[3:4], v[5:6], off
.LBB19_2130:
	s_andn2_b64 vcc, exec, s[0:1]
	s_cbranch_vccnz .LBB19_2132
; %bb.2131:
	global_store_dword v[3:4], v1, off
.LBB19_2132:
	s_mov_b64 s[0:1], 0
.LBB19_2133:
	s_andn2_b64 vcc, exec, s[0:1]
	s_cbranch_vccnz .LBB19_2135
; %bb.2134:
	v_cvt_f16_f32_e32 v2, v1
	global_store_short v[3:4], v2, off
.LBB19_2135:
	s_mov_b64 s[0:1], 0
.LBB19_2136:
	s_andn2_b64 vcc, exec, s[0:1]
	s_cbranch_vccnz .LBB19_2152
; %bb.2137:
	s_cmp_lt_i32 s4, 2
	s_mov_b64 s[0:1], -1
	s_cbranch_scc1 .LBB19_2147
; %bb.2138:
	s_cmp_lt_i32 s4, 3
	s_cbranch_scc1 .LBB19_2144
; %bb.2139:
	s_cmp_gt_i32 s4, 3
	s_cbranch_scc0 .LBB19_2141
; %bb.2140:
	v_trunc_f32_e32 v2, v1
	s_mov_b32 s0, 0x2f800000
	v_mul_f32_e64 v5, |v2|, s0
	v_floor_f32_e32 v5, v5
	s_mov_b32 s0, 0xcf800000
	v_cvt_u32_f32_e32 v6, v5
	v_fma_f32 v5, v5, s0, |v2|
	v_cvt_u32_f32_e32 v5, v5
	v_ashrrev_i32_e32 v2, 31, v2
	v_xor_b32_e32 v6, v6, v2
	s_mov_b64 s[0:1], 0
	v_xor_b32_e32 v5, v5, v2
	v_sub_co_u32_e32 v5, vcc, v5, v2
	v_subb_co_u32_e32 v6, vcc, v6, v2, vcc
	global_store_dwordx2 v[3:4], v[5:6], off
.LBB19_2141:
	s_andn2_b64 vcc, exec, s[0:1]
	s_cbranch_vccnz .LBB19_2143
; %bb.2142:
	v_cvt_i32_f32_e32 v2, v1
	global_store_dword v[3:4], v2, off
.LBB19_2143:
	s_mov_b64 s[0:1], 0
.LBB19_2144:
	s_andn2_b64 vcc, exec, s[0:1]
	s_cbranch_vccnz .LBB19_2146
; %bb.2145:
	v_cvt_i32_f32_e32 v2, v1
	global_store_short v[3:4], v2, off
.LBB19_2146:
	s_mov_b64 s[0:1], 0
.LBB19_2147:
	s_andn2_b64 vcc, exec, s[0:1]
	s_cbranch_vccnz .LBB19_2152
; %bb.2148:
	s_cmp_gt_i32 s4, 0
	s_mov_b64 s[0:1], -1
	s_cbranch_scc0 .LBB19_2150
; %bb.2149:
	v_cvt_i32_f32_e32 v2, v1
	s_mov_b64 s[0:1], 0
	global_store_byte v[3:4], v2, off
.LBB19_2150:
	s_andn2_b64 vcc, exec, s[0:1]
	s_cbranch_vccnz .LBB19_2152
; %bb.2151:
	v_trunc_f32_e32 v1, v1
	s_mov_b32 s0, 0x2f800000
	v_mul_f32_e64 v2, |v1|, s0
	v_floor_f32_e32 v2, v2
	s_mov_b32 s0, 0xcf800000
	v_fma_f32 v2, v2, s0, |v1|
	v_cvt_u32_f32_e32 v2, v2
	v_ashrrev_i32_e32 v1, 31, v1
	v_xor_b32_e32 v2, v2, v1
	v_sub_u32_e32 v1, v2, v1
	global_store_byte v[3:4], v1, off
.LBB19_2152:
	s_mov_b64 s[6:7], -1
.LBB19_2153:
	s_andn2_b64 vcc, exec, s[6:7]
	s_cbranch_vccnz .LBB19_2230
; %bb.2154:
	v_mov_b32_e32 v1, s9
	v_add_co_u32_e32 v0, vcc, s8, v0
	s_cmp_lt_i32 s14, 11
	v_addc_co_u32_e32 v1, vcc, 0, v1, vcc
	s_cbranch_scc1 .LBB19_2231
; %bb.2155:
	s_and_b32 s12, 0xffff, s14
	s_mov_b64 s[6:7], -1
	s_mov_b64 s[4:5], 0
	s_cmp_gt_i32 s12, 25
	s_mov_b64 s[0:1], 0
	s_cbranch_scc0 .LBB19_2188
; %bb.2156:
	s_cmp_gt_i32 s12, 28
	s_cbranch_scc0 .LBB19_2172
; %bb.2157:
	s_cmp_gt_i32 s12, 43
	;; [unrolled: 3-line block ×3, first 2 shown]
	s_cbranch_scc0 .LBB19_2162
; %bb.2159:
	s_cmp_eq_u32 s12, 46
	s_mov_b64 s[0:1], -1
	s_cbranch_scc0 .LBB19_2161
; %bb.2160:
	v_bfe_u32 v2, v7, 16, 1
	s_movk_i32 s0, 0x7fff
	v_add3_u32 v2, v7, v2, s0
	v_cmp_o_f32_e32 vcc, v7, v7
	v_mov_b32_e32 v3, 0x7fc0
	v_cndmask_b32_sdwa v2, v3, v2, vcc dst_sel:DWORD dst_unused:UNUSED_PAD src0_sel:DWORD src1_sel:WORD_1
	global_store_dword v[0:1], v2, off
	s_mov_b64 s[0:1], 0
.LBB19_2161:
	s_mov_b64 s[6:7], 0
.LBB19_2162:
	s_and_b64 vcc, exec, s[6:7]
	s_cbranch_vccz .LBB19_2167
; %bb.2163:
	s_cmp_eq_u32 s12, 44
	s_mov_b64 s[0:1], -1
	s_cbranch_scc0 .LBB19_2167
; %bb.2164:
	v_bfe_u32 v2, v7, 23, 8
	s_movk_i32 s0, 0xff
	v_cmp_ne_u32_e32 vcc, s0, v2
	v_mov_b32_e32 v3, 0xff
	s_and_saveexec_b64 s[6:7], vcc
; %bb.2165:
	s_mov_b32 s0, 0x3fffff
	v_and_b32_e32 v4, 0x400000, v7
	v_and_or_b32 v2, v7, s0, v2
	v_cmp_ne_u32_e32 vcc, 0, v4
	v_cmp_ne_u32_e64 s[0:1], 0, v2
	s_and_b64 s[0:1], vcc, s[0:1]
	v_lshrrev_b32_e32 v3, 23, v7
	v_cndmask_b32_e64 v2, 0, 1, s[0:1]
	v_add_u32_e32 v3, v3, v2
; %bb.2166:
	s_or_b64 exec, exec, s[6:7]
	s_mov_b64 s[0:1], 0
	global_store_byte v[0:1], v3, off
.LBB19_2167:
	s_mov_b64 s[6:7], 0
.LBB19_2168:
	s_and_b64 vcc, exec, s[6:7]
	s_cbranch_vccz .LBB19_2171
; %bb.2169:
	s_cmp_eq_u32 s12, 29
	s_mov_b64 s[0:1], -1
	s_cbranch_scc0 .LBB19_2171
; %bb.2170:
	v_trunc_f32_e32 v2, v7
	v_mul_f32_e32 v3, 0x2f800000, v2
	v_floor_f32_e32 v4, v3
	v_fmac_f32_e32 v2, 0xcf800000, v4
	v_cvt_u32_f32_e32 v3, v4
	v_cvt_u32_f32_e32 v2, v2
	s_mov_b64 s[0:1], 0
	global_store_dwordx2 v[0:1], v[2:3], off
.LBB19_2171:
	s_mov_b64 s[6:7], 0
.LBB19_2172:
	s_and_b64 vcc, exec, s[6:7]
	s_cbranch_vccz .LBB19_2187
; %bb.2173:
	s_cmp_lt_i32 s12, 27
	s_mov_b64 s[6:7], -1
	s_cbranch_scc1 .LBB19_2179
; %bb.2174:
	s_cmp_gt_i32 s12, 27
	s_cbranch_scc0 .LBB19_2176
; %bb.2175:
	v_cvt_u32_f32_e32 v2, v7
	s_mov_b64 s[6:7], 0
	global_store_dword v[0:1], v2, off
.LBB19_2176:
	s_andn2_b64 vcc, exec, s[6:7]
	s_cbranch_vccnz .LBB19_2178
; %bb.2177:
	v_cvt_u32_f32_e32 v2, v7
	global_store_short v[0:1], v2, off
.LBB19_2178:
	s_mov_b64 s[6:7], 0
.LBB19_2179:
	s_andn2_b64 vcc, exec, s[6:7]
	s_cbranch_vccnz .LBB19_2187
; %bb.2180:
	v_and_b32_e32 v2, 0x7fffffff, v7
	s_mov_b32 s6, 0x43800000
	v_cmp_gt_u32_e32 vcc, s6, v2
	v_mov_b32_e32 v3, 0x80
	s_and_saveexec_b64 s[6:7], vcc
	s_cbranch_execz .LBB19_2186
; %bb.2181:
	s_mov_b32 s8, 0x3bffffff
	v_cmp_lt_u32_e32 vcc, s8, v2
	s_mov_b64 s[8:9], 0
                                        ; implicit-def: $vgpr2
	s_and_saveexec_b64 s[10:11], vcc
	s_xor_b64 s[10:11], exec, s[10:11]
	s_cbranch_execz .LBB19_2248
; %bb.2182:
	v_bfe_u32 v2, v7, 20, 1
	s_mov_b32 s13, 0x487ffff
	v_add3_u32 v2, v7, v2, s13
	s_mov_b64 s[8:9], exec
	v_lshrrev_b32_e32 v2, 20, v2
	s_andn2_saveexec_b64 s[10:11], s[10:11]
	s_cbranch_execnz .LBB19_2249
.LBB19_2183:
	s_or_b64 exec, exec, s[10:11]
	v_mov_b32_e32 v3, 0
	s_and_saveexec_b64 s[10:11], s[8:9]
.LBB19_2184:
	v_lshrrev_b32_e32 v3, 24, v7
	s_movk_i32 s8, 0x80
	v_and_or_b32 v3, v3, s8, v2
.LBB19_2185:
	s_or_b64 exec, exec, s[10:11]
.LBB19_2186:
	s_or_b64 exec, exec, s[6:7]
	global_store_byte v[0:1], v3, off
.LBB19_2187:
	s_mov_b64 s[6:7], 0
.LBB19_2188:
	s_and_b64 vcc, exec, s[6:7]
	s_cbranch_vccz .LBB19_2228
; %bb.2189:
	s_cmp_gt_i32 s12, 22
	s_mov_b64 s[4:5], -1
	s_cbranch_scc0 .LBB19_2221
; %bb.2190:
	s_cmp_lt_i32 s12, 24
	s_cbranch_scc1 .LBB19_2210
; %bb.2191:
	s_cmp_gt_i32 s12, 24
	s_cbranch_scc0 .LBB19_2199
; %bb.2192:
	v_and_b32_e32 v2, 0x7fffffff, v7
	s_mov_b32 s4, 0x47800000
	v_cmp_gt_u32_e32 vcc, s4, v2
	v_mov_b32_e32 v3, 0x80
	s_and_saveexec_b64 s[4:5], vcc
	s_cbranch_execz .LBB19_2198
; %bb.2193:
	s_mov_b32 s6, 0x37ffffff
	v_cmp_lt_u32_e32 vcc, s6, v2
	s_mov_b64 s[6:7], 0
                                        ; implicit-def: $vgpr2
	s_and_saveexec_b64 s[8:9], vcc
	s_xor_b64 s[8:9], exec, s[8:9]
	s_cbranch_execz .LBB19_2251
; %bb.2194:
	v_bfe_u32 v2, v7, 21, 1
	s_mov_b32 s10, 0x88fffff
	v_add3_u32 v2, v7, v2, s10
	s_mov_b64 s[6:7], exec
	v_lshrrev_b32_e32 v2, 21, v2
	s_andn2_saveexec_b64 s[8:9], s[8:9]
	s_cbranch_execnz .LBB19_2252
.LBB19_2195:
	s_or_b64 exec, exec, s[8:9]
	v_mov_b32_e32 v3, 0
	s_and_saveexec_b64 s[8:9], s[6:7]
.LBB19_2196:
	v_lshrrev_b32_e32 v3, 24, v7
	s_movk_i32 s6, 0x80
	v_and_or_b32 v3, v3, s6, v2
.LBB19_2197:
	s_or_b64 exec, exec, s[8:9]
.LBB19_2198:
	s_or_b64 exec, exec, s[4:5]
	s_mov_b64 s[4:5], 0
	global_store_byte v[0:1], v3, off
.LBB19_2199:
	s_and_b64 vcc, exec, s[4:5]
	s_cbranch_vccz .LBB19_2209
; %bb.2200:
	v_and_b32_e32 v3, 0x7fffffff, v7
	s_mov_b32 s4, 0x43f00000
	v_cmp_gt_u32_e32 vcc, s4, v3
                                        ; implicit-def: $vgpr2
	s_and_saveexec_b64 s[4:5], vcc
	s_xor_b64 s[4:5], exec, s[4:5]
	s_cbranch_execz .LBB19_2206
; %bb.2201:
	s_mov_b32 s6, 0x3c7fffff
	v_cmp_lt_u32_e32 vcc, s6, v3
                                        ; implicit-def: $vgpr2
	s_and_saveexec_b64 s[6:7], vcc
	s_xor_b64 s[6:7], exec, s[6:7]
; %bb.2202:
	v_bfe_u32 v2, v7, 20, 1
	s_mov_b32 s8, 0x407ffff
	v_add3_u32 v2, v7, v2, s8
	v_lshrrev_b32_e32 v3, 20, v2
	v_and_b32_e32 v2, 0xff00000, v2
	s_mov_b32 s8, 0x7f00000
	v_mov_b32_e32 v4, 0x7e
	v_cmp_ne_u32_e32 vcc, s8, v2
	v_cndmask_b32_e32 v2, v4, v3, vcc
; %bb.2203:
	s_andn2_saveexec_b64 s[6:7], s[6:7]
; %bb.2204:
	s_mov_b32 s8, 0x46800000
	v_add_f32_e64 v2, |v7|, s8
; %bb.2205:
	s_or_b64 exec, exec, s[6:7]
                                        ; implicit-def: $vgpr3
.LBB19_2206:
	s_andn2_saveexec_b64 s[4:5], s[4:5]
; %bb.2207:
	s_mov_b32 s6, 0x7f800000
	v_mov_b32_e32 v2, 0x7e
	v_mov_b32_e32 v4, 0x7f
	v_cmp_lt_u32_e32 vcc, s6, v3
	v_cndmask_b32_e32 v2, v2, v4, vcc
; %bb.2208:
	s_or_b64 exec, exec, s[4:5]
	v_lshrrev_b32_e32 v3, 24, v7
	s_movk_i32 s4, 0x80
	v_and_or_b32 v2, v3, s4, v2
	global_store_byte v[0:1], v2, off
.LBB19_2209:
	s_mov_b64 s[4:5], 0
.LBB19_2210:
	s_andn2_b64 vcc, exec, s[4:5]
	s_cbranch_vccnz .LBB19_2220
; %bb.2211:
	v_and_b32_e32 v3, 0x7fffffff, v7
	s_mov_b32 s4, 0x47800000
	v_cmp_gt_u32_e32 vcc, s4, v3
                                        ; implicit-def: $vgpr2
	s_and_saveexec_b64 s[4:5], vcc
	s_xor_b64 s[4:5], exec, s[4:5]
	s_cbranch_execz .LBB19_2217
; %bb.2212:
	s_mov_b32 s6, 0x387fffff
	v_cmp_lt_u32_e32 vcc, s6, v3
                                        ; implicit-def: $vgpr2
	s_and_saveexec_b64 s[6:7], vcc
	s_xor_b64 s[6:7], exec, s[6:7]
; %bb.2213:
	v_bfe_u32 v2, v7, 21, 1
	s_mov_b32 s8, 0x80fffff
	v_add3_u32 v2, v7, v2, s8
	v_lshrrev_b32_e32 v2, 21, v2
; %bb.2214:
	s_andn2_saveexec_b64 s[6:7], s[6:7]
; %bb.2215:
	s_mov_b32 s8, 0x43000000
	v_add_f32_e64 v2, |v7|, s8
; %bb.2216:
	s_or_b64 exec, exec, s[6:7]
                                        ; implicit-def: $vgpr3
.LBB19_2217:
	s_andn2_saveexec_b64 s[4:5], s[4:5]
; %bb.2218:
	s_mov_b32 s6, 0x7f800000
	v_mov_b32_e32 v2, 0x7c
	v_mov_b32_e32 v4, 0x7f
	v_cmp_lt_u32_e32 vcc, s6, v3
	v_cndmask_b32_e32 v2, v2, v4, vcc
; %bb.2219:
	s_or_b64 exec, exec, s[4:5]
	v_lshrrev_b32_e32 v3, 24, v7
	s_movk_i32 s4, 0x80
	v_and_or_b32 v2, v3, s4, v2
	global_store_byte v[0:1], v2, off
.LBB19_2220:
	s_mov_b64 s[4:5], 0
.LBB19_2221:
	s_andn2_b64 vcc, exec, s[4:5]
	s_mov_b64 s[4:5], 0
	s_cbranch_vccnz .LBB19_2228
; %bb.2222:
	s_cmp_gt_i32 s12, 14
	s_mov_b64 s[6:7], -1
	s_cbranch_scc0 .LBB19_2226
; %bb.2223:
	s_cmp_eq_u32 s12, 15
	s_mov_b64 s[0:1], -1
	s_cbranch_scc0 .LBB19_2225
; %bb.2224:
	v_bfe_u32 v2, v7, 16, 1
	s_movk_i32 s0, 0x7fff
	v_add3_u32 v2, v7, v2, s0
	v_cmp_o_f32_e32 vcc, v7, v7
	v_mov_b32_e32 v3, 0x7fc0
	v_cndmask_b32_sdwa v2, v3, v2, vcc dst_sel:DWORD dst_unused:UNUSED_PAD src0_sel:DWORD src1_sel:WORD_1
	global_store_short v[0:1], v2, off
	s_mov_b64 s[0:1], 0
.LBB19_2225:
	s_mov_b64 s[6:7], 0
.LBB19_2226:
	s_and_b64 vcc, exec, s[6:7]
	s_cbranch_vccz .LBB19_2228
; %bb.2227:
	s_cmp_lg_u32 s12, 11
	s_mov_b64 s[4:5], -1
	s_cselect_b64 s[0:1], -1, 0
.LBB19_2228:
	s_and_b64 vcc, exec, s[0:1]
	s_cbranch_vccnz .LBB19_2250
.LBB19_2229:
	s_mov_b64 s[0:1], 0
	s_branch .LBB19_1831
.LBB19_2230:
	s_mov_b64 s[0:1], 0
                                        ; implicit-def: $vgpr0_vgpr1
                                        ; implicit-def: $sgpr14
	s_branch .LBB19_1830
.LBB19_2231:
	s_mov_b64 s[4:5], 0
	s_mov_b64 s[0:1], -1
	s_branch .LBB19_1831
.LBB19_2232:
	s_trap 2
	s_or_b64 s[2:3], s[2:3], exec
	s_cbranch_execz .LBB19_1687
	s_branch .LBB19_1688
.LBB19_2233:
	s_andn2_saveexec_b64 s[12:13], s[12:13]
	s_cbranch_execz .LBB19_1779
.LBB19_2234:
	s_mov_b32 s17, 0x46000000
	v_add_f32_e64 v6, |v5|, s17
	v_and_b32_e32 v6, 0xff, v6
	v_cmp_ne_u32_e32 vcc, 0, v6
	s_andn2_b64 s[10:11], s[10:11], exec
	s_and_b64 s[18:19], vcc, exec
	s_or_b64 s[10:11], s[10:11], s[18:19]
	s_or_b64 exec, exec, s[12:13]
	v_mov_b32_e32 v10, 0
	s_and_saveexec_b64 s[12:13], s[10:11]
	s_cbranch_execnz .LBB19_1780
	s_branch .LBB19_1781
.LBB19_2235:
	s_trap 2
	s_or_b64 s[2:3], s[2:3], exec
	s_cbranch_execz .LBB19_1827
	s_branch .LBB19_1828
.LBB19_2236:
	s_andn2_saveexec_b64 s[10:11], s[10:11]
	s_cbranch_execz .LBB19_1792
.LBB19_2237:
	s_mov_b32 s12, 0x42800000
	v_add_f32_e64 v6, |v5|, s12
	v_and_b32_e32 v6, 0xff, v6
	v_cmp_ne_u32_e32 vcc, 0, v6
	s_andn2_b64 s[6:7], s[6:7], exec
	s_and_b64 s[12:13], vcc, exec
	s_or_b64 s[6:7], s[6:7], s[12:13]
	s_or_b64 exec, exec, s[10:11]
	v_mov_b32_e32 v10, 0
	s_and_saveexec_b64 s[10:11], s[6:7]
	s_cbranch_execnz .LBB19_1793
	s_branch .LBB19_1794
.LBB19_2238:
	s_andn2_saveexec_b64 s[12:13], s[12:13]
	s_cbranch_execz .LBB19_1944
.LBB19_2239:
	s_mov_b32 s16, 0x46000000
	v_add_f32_e64 v4, |v3|, s16
	v_and_b32_e32 v4, 0xff, v4
	v_cmp_ne_u32_e32 vcc, 0, v4
	s_andn2_b64 s[10:11], s[10:11], exec
	s_and_b64 s[16:17], vcc, exec
	s_or_b64 s[10:11], s[10:11], s[16:17]
	s_or_b64 exec, exec, s[12:13]
	v_mov_b32_e32 v8, 0
	s_and_saveexec_b64 s[12:13], s[10:11]
	s_cbranch_execnz .LBB19_1945
	s_branch .LBB19_1946
.LBB19_2240:
	s_trap 2
	s_or_b64 s[2:3], s[2:3], exec
	s_cbranch_execz .LBB19_1992
	s_branch .LBB19_1993
.LBB19_2241:
	s_andn2_saveexec_b64 s[10:11], s[10:11]
	s_cbranch_execz .LBB19_1957
.LBB19_2242:
	s_mov_b32 s12, 0x42800000
	v_add_f32_e64 v4, |v3|, s12
	v_and_b32_e32 v4, 0xff, v4
	v_cmp_ne_u32_e32 vcc, 0, v4
	s_andn2_b64 s[6:7], s[6:7], exec
	s_and_b64 s[12:13], vcc, exec
	s_or_b64 s[6:7], s[6:7], s[12:13]
	s_or_b64 exec, exec, s[10:11]
	v_mov_b32_e32 v8, 0
	s_and_saveexec_b64 s[10:11], s[6:7]
	s_cbranch_execnz .LBB19_1958
	s_branch .LBB19_1959
.LBB19_2243:
	s_andn2_saveexec_b64 s[12:13], s[12:13]
	s_cbranch_execz .LBB19_2063
.LBB19_2244:
	s_mov_b32 s16, 0x46000000
	v_add_f32_e64 v2, |v1|, s16
	v_and_b32_e32 v2, 0xff, v2
	v_cmp_ne_u32_e32 vcc, 0, v2
	s_andn2_b64 s[10:11], s[10:11], exec
	s_and_b64 s[16:17], vcc, exec
	s_or_b64 s[10:11], s[10:11], s[16:17]
	s_or_b64 exec, exec, s[12:13]
	v_mov_b32_e32 v5, 0
	s_and_saveexec_b64 s[12:13], s[10:11]
	s_cbranch_execnz .LBB19_2064
	s_branch .LBB19_2065
.LBB19_2245:
	s_trap 2
	s_or_b64 s[2:3], s[2:3], exec
	s_cbranch_execz .LBB19_2111
	s_branch .LBB19_2112
.LBB19_2246:
	s_andn2_saveexec_b64 s[10:11], s[10:11]
	s_cbranch_execz .LBB19_2076
.LBB19_2247:
	s_mov_b32 s12, 0x42800000
	v_add_f32_e64 v2, |v1|, s12
	v_and_b32_e32 v2, 0xff, v2
	v_cmp_ne_u32_e32 vcc, 0, v2
	s_andn2_b64 s[6:7], s[6:7], exec
	s_and_b64 s[12:13], vcc, exec
	s_or_b64 s[6:7], s[6:7], s[12:13]
	s_or_b64 exec, exec, s[10:11]
	v_mov_b32_e32 v5, 0
	s_and_saveexec_b64 s[10:11], s[6:7]
	s_cbranch_execnz .LBB19_2077
	s_branch .LBB19_2078
.LBB19_2248:
	s_andn2_saveexec_b64 s[10:11], s[10:11]
	s_cbranch_execz .LBB19_2183
.LBB19_2249:
	s_mov_b32 s13, 0x46000000
	v_add_f32_e64 v2, |v7|, s13
	v_and_b32_e32 v2, 0xff, v2
	v_cmp_ne_u32_e32 vcc, 0, v2
	s_andn2_b64 s[8:9], s[8:9], exec
	s_and_b64 s[16:17], vcc, exec
	s_or_b64 s[8:9], s[8:9], s[16:17]
	s_or_b64 exec, exec, s[10:11]
	v_mov_b32_e32 v3, 0
	s_and_saveexec_b64 s[10:11], s[8:9]
	s_cbranch_execnz .LBB19_2184
	s_branch .LBB19_2185
.LBB19_2250:
	s_mov_b64 s[4:5], 0
	s_or_b64 s[2:3], s[2:3], exec
	s_trap 2
	s_branch .LBB19_2229
.LBB19_2251:
	s_andn2_saveexec_b64 s[8:9], s[8:9]
	s_cbranch_execz .LBB19_2195
.LBB19_2252:
	s_mov_b32 s10, 0x42800000
	v_add_f32_e64 v2, |v7|, s10
	v_and_b32_e32 v2, 0xff, v2
	v_cmp_ne_u32_e32 vcc, 0, v2
	s_andn2_b64 s[6:7], s[6:7], exec
	s_and_b64 s[10:11], vcc, exec
	s_or_b64 s[6:7], s[6:7], s[10:11]
	s_or_b64 exec, exec, s[8:9]
	v_mov_b32_e32 v3, 0
	s_and_saveexec_b64 s[8:9], s[6:7]
	s_cbranch_execnz .LBB19_2196
	s_branch .LBB19_2197
	.section	.rodata,"a",@progbits
	.p2align	6, 0x0
	.amdhsa_kernel _ZN2at6native32elementwise_kernel_manual_unrollILi128ELi4EZNS0_15gpu_kernel_implIZZZNS0_12_GLOBAL__N_130modified_bessel_i1_kernel_cudaERNS_18TensorIteratorBaseEENKUlvE_clEvENKUlvE0_clEvEUlfE_EEvS5_RKT_EUlibE0_EEviT1_
		.amdhsa_group_segment_fixed_size 0
		.amdhsa_private_segment_fixed_size 0
		.amdhsa_kernarg_size 360
		.amdhsa_user_sgpr_count 6
		.amdhsa_user_sgpr_private_segment_buffer 1
		.amdhsa_user_sgpr_dispatch_ptr 0
		.amdhsa_user_sgpr_queue_ptr 0
		.amdhsa_user_sgpr_kernarg_segment_ptr 1
		.amdhsa_user_sgpr_dispatch_id 0
		.amdhsa_user_sgpr_flat_scratch_init 0
		.amdhsa_user_sgpr_private_segment_size 0
		.amdhsa_uses_dynamic_stack 0
		.amdhsa_system_sgpr_private_segment_wavefront_offset 0
		.amdhsa_system_sgpr_workgroup_id_x 1
		.amdhsa_system_sgpr_workgroup_id_y 0
		.amdhsa_system_sgpr_workgroup_id_z 0
		.amdhsa_system_sgpr_workgroup_info 0
		.amdhsa_system_vgpr_workitem_id 0
		.amdhsa_next_free_vgpr 18
		.amdhsa_next_free_sgpr 78
		.amdhsa_reserve_vcc 1
		.amdhsa_reserve_flat_scratch 0
		.amdhsa_float_round_mode_32 0
		.amdhsa_float_round_mode_16_64 0
		.amdhsa_float_denorm_mode_32 3
		.amdhsa_float_denorm_mode_16_64 3
		.amdhsa_dx10_clamp 1
		.amdhsa_ieee_mode 1
		.amdhsa_fp16_overflow 0
		.amdhsa_exception_fp_ieee_invalid_op 0
		.amdhsa_exception_fp_denorm_src 0
		.amdhsa_exception_fp_ieee_div_zero 0
		.amdhsa_exception_fp_ieee_overflow 0
		.amdhsa_exception_fp_ieee_underflow 0
		.amdhsa_exception_fp_ieee_inexact 0
		.amdhsa_exception_int_div_zero 0
	.end_amdhsa_kernel
	.section	.text._ZN2at6native32elementwise_kernel_manual_unrollILi128ELi4EZNS0_15gpu_kernel_implIZZZNS0_12_GLOBAL__N_130modified_bessel_i1_kernel_cudaERNS_18TensorIteratorBaseEENKUlvE_clEvENKUlvE0_clEvEUlfE_EEvS5_RKT_EUlibE0_EEviT1_,"axG",@progbits,_ZN2at6native32elementwise_kernel_manual_unrollILi128ELi4EZNS0_15gpu_kernel_implIZZZNS0_12_GLOBAL__N_130modified_bessel_i1_kernel_cudaERNS_18TensorIteratorBaseEENKUlvE_clEvENKUlvE0_clEvEUlfE_EEvS5_RKT_EUlibE0_EEviT1_,comdat
.Lfunc_end19:
	.size	_ZN2at6native32elementwise_kernel_manual_unrollILi128ELi4EZNS0_15gpu_kernel_implIZZZNS0_12_GLOBAL__N_130modified_bessel_i1_kernel_cudaERNS_18TensorIteratorBaseEENKUlvE_clEvENKUlvE0_clEvEUlfE_EEvS5_RKT_EUlibE0_EEviT1_, .Lfunc_end19-_ZN2at6native32elementwise_kernel_manual_unrollILi128ELi4EZNS0_15gpu_kernel_implIZZZNS0_12_GLOBAL__N_130modified_bessel_i1_kernel_cudaERNS_18TensorIteratorBaseEENKUlvE_clEvENKUlvE0_clEvEUlfE_EEvS5_RKT_EUlibE0_EEviT1_
                                        ; -- End function
	.set _ZN2at6native32elementwise_kernel_manual_unrollILi128ELi4EZNS0_15gpu_kernel_implIZZZNS0_12_GLOBAL__N_130modified_bessel_i1_kernel_cudaERNS_18TensorIteratorBaseEENKUlvE_clEvENKUlvE0_clEvEUlfE_EEvS5_RKT_EUlibE0_EEviT1_.num_vgpr, 18
	.set _ZN2at6native32elementwise_kernel_manual_unrollILi128ELi4EZNS0_15gpu_kernel_implIZZZNS0_12_GLOBAL__N_130modified_bessel_i1_kernel_cudaERNS_18TensorIteratorBaseEENKUlvE_clEvENKUlvE0_clEvEUlfE_EEvS5_RKT_EUlibE0_EEviT1_.num_agpr, 0
	.set _ZN2at6native32elementwise_kernel_manual_unrollILi128ELi4EZNS0_15gpu_kernel_implIZZZNS0_12_GLOBAL__N_130modified_bessel_i1_kernel_cudaERNS_18TensorIteratorBaseEENKUlvE_clEvENKUlvE0_clEvEUlfE_EEvS5_RKT_EUlibE0_EEviT1_.numbered_sgpr, 78
	.set _ZN2at6native32elementwise_kernel_manual_unrollILi128ELi4EZNS0_15gpu_kernel_implIZZZNS0_12_GLOBAL__N_130modified_bessel_i1_kernel_cudaERNS_18TensorIteratorBaseEENKUlvE_clEvENKUlvE0_clEvEUlfE_EEvS5_RKT_EUlibE0_EEviT1_.num_named_barrier, 0
	.set _ZN2at6native32elementwise_kernel_manual_unrollILi128ELi4EZNS0_15gpu_kernel_implIZZZNS0_12_GLOBAL__N_130modified_bessel_i1_kernel_cudaERNS_18TensorIteratorBaseEENKUlvE_clEvENKUlvE0_clEvEUlfE_EEvS5_RKT_EUlibE0_EEviT1_.private_seg_size, 0
	.set _ZN2at6native32elementwise_kernel_manual_unrollILi128ELi4EZNS0_15gpu_kernel_implIZZZNS0_12_GLOBAL__N_130modified_bessel_i1_kernel_cudaERNS_18TensorIteratorBaseEENKUlvE_clEvENKUlvE0_clEvEUlfE_EEvS5_RKT_EUlibE0_EEviT1_.uses_vcc, 1
	.set _ZN2at6native32elementwise_kernel_manual_unrollILi128ELi4EZNS0_15gpu_kernel_implIZZZNS0_12_GLOBAL__N_130modified_bessel_i1_kernel_cudaERNS_18TensorIteratorBaseEENKUlvE_clEvENKUlvE0_clEvEUlfE_EEvS5_RKT_EUlibE0_EEviT1_.uses_flat_scratch, 0
	.set _ZN2at6native32elementwise_kernel_manual_unrollILi128ELi4EZNS0_15gpu_kernel_implIZZZNS0_12_GLOBAL__N_130modified_bessel_i1_kernel_cudaERNS_18TensorIteratorBaseEENKUlvE_clEvENKUlvE0_clEvEUlfE_EEvS5_RKT_EUlibE0_EEviT1_.has_dyn_sized_stack, 0
	.set _ZN2at6native32elementwise_kernel_manual_unrollILi128ELi4EZNS0_15gpu_kernel_implIZZZNS0_12_GLOBAL__N_130modified_bessel_i1_kernel_cudaERNS_18TensorIteratorBaseEENKUlvE_clEvENKUlvE0_clEvEUlfE_EEvS5_RKT_EUlibE0_EEviT1_.has_recursion, 0
	.set _ZN2at6native32elementwise_kernel_manual_unrollILi128ELi4EZNS0_15gpu_kernel_implIZZZNS0_12_GLOBAL__N_130modified_bessel_i1_kernel_cudaERNS_18TensorIteratorBaseEENKUlvE_clEvENKUlvE0_clEvEUlfE_EEvS5_RKT_EUlibE0_EEviT1_.has_indirect_call, 0
	.section	.AMDGPU.csdata,"",@progbits
; Kernel info:
; codeLenInByte = 51324
; TotalNumSgprs: 82
; NumVgprs: 18
; ScratchSize: 0
; MemoryBound: 1
; FloatMode: 240
; IeeeMode: 1
; LDSByteSize: 0 bytes/workgroup (compile time only)
; SGPRBlocks: 10
; VGPRBlocks: 4
; NumSGPRsForWavesPerEU: 82
; NumVGPRsForWavesPerEU: 18
; Occupancy: 9
; WaveLimiterHint : 1
; COMPUTE_PGM_RSRC2:SCRATCH_EN: 0
; COMPUTE_PGM_RSRC2:USER_SGPR: 6
; COMPUTE_PGM_RSRC2:TRAP_HANDLER: 0
; COMPUTE_PGM_RSRC2:TGID_X_EN: 1
; COMPUTE_PGM_RSRC2:TGID_Y_EN: 0
; COMPUTE_PGM_RSRC2:TGID_Z_EN: 0
; COMPUTE_PGM_RSRC2:TIDIG_COMP_CNT: 0
	.section	.AMDGPU.gpr_maximums,"",@progbits
	.set amdgpu.max_num_vgpr, 32
	.set amdgpu.max_num_agpr, 0
	.set amdgpu.max_num_sgpr, 32
	.section	.AMDGPU.csdata,"",@progbits
	.type	__hip_cuid_a3e80eb8cfdebd54,@object ; @__hip_cuid_a3e80eb8cfdebd54
	.section	.bss,"aw",@nobits
	.globl	__hip_cuid_a3e80eb8cfdebd54
__hip_cuid_a3e80eb8cfdebd54:
	.byte	0                               ; 0x0
	.size	__hip_cuid_a3e80eb8cfdebd54, 1

	.ident	"AMD clang version 22.0.0git (https://github.com/RadeonOpenCompute/llvm-project roc-7.2.4 26084 f58b06dce1f9c15707c5f808fd002e18c2accf7e)"
	.section	".note.GNU-stack","",@progbits
	.addrsig
	.addrsig_sym __hip_cuid_a3e80eb8cfdebd54
	.amdgpu_metadata
---
amdhsa.kernels:
  - .args:
      - .offset:         0
        .size:           4
        .value_kind:     by_value
      - .offset:         4
        .size:           1
        .value_kind:     by_value
      - .offset:         8
        .size:           16
        .value_kind:     by_value
    .group_segment_fixed_size: 0
    .kernarg_segment_align: 8
    .kernarg_segment_size: 24
    .language:       OpenCL C
    .language_version:
      - 2
      - 0
    .max_flat_workgroup_size: 256
    .name:           _ZN2at6native29vectorized_elementwise_kernelILi16EZZZNS0_12_GLOBAL__N_130modified_bessel_i1_kernel_cudaERNS_18TensorIteratorBaseEENKUlvE_clEvENKUlvE_clEvEUldE_St5arrayIPcLm2EEEEviT0_T1_
    .private_segment_fixed_size: 0
    .sgpr_count:     37
    .sgpr_spill_count: 0
    .symbol:         _ZN2at6native29vectorized_elementwise_kernelILi16EZZZNS0_12_GLOBAL__N_130modified_bessel_i1_kernel_cudaERNS_18TensorIteratorBaseEENKUlvE_clEvENKUlvE_clEvEUldE_St5arrayIPcLm2EEEEviT0_T1_.kd
    .uniform_work_group_size: 1
    .uses_dynamic_stack: false
    .vgpr_count:     32
    .vgpr_spill_count: 0
    .wavefront_size: 64
  - .args:
      - .offset:         0
        .size:           4
        .value_kind:     by_value
      - .offset:         4
        .size:           1
        .value_kind:     by_value
      - .offset:         8
        .size:           16
        .value_kind:     by_value
    .group_segment_fixed_size: 0
    .kernarg_segment_align: 8
    .kernarg_segment_size: 24
    .language:       OpenCL C
    .language_version:
      - 2
      - 0
    .max_flat_workgroup_size: 256
    .name:           _ZN2at6native29vectorized_elementwise_kernelILi8EZZZNS0_12_GLOBAL__N_130modified_bessel_i1_kernel_cudaERNS_18TensorIteratorBaseEENKUlvE_clEvENKUlvE_clEvEUldE_St5arrayIPcLm2EEEEviT0_T1_
    .private_segment_fixed_size: 0
    .sgpr_count:     37
    .sgpr_spill_count: 0
    .symbol:         _ZN2at6native29vectorized_elementwise_kernelILi8EZZZNS0_12_GLOBAL__N_130modified_bessel_i1_kernel_cudaERNS_18TensorIteratorBaseEENKUlvE_clEvENKUlvE_clEvEUldE_St5arrayIPcLm2EEEEviT0_T1_.kd
    .uniform_work_group_size: 1
    .uses_dynamic_stack: false
    .vgpr_count:     32
    .vgpr_spill_count: 0
    .wavefront_size: 64
  - .args:
      - .offset:         0
        .size:           4
        .value_kind:     by_value
      - .offset:         4
        .size:           1
        .value_kind:     by_value
      - .offset:         8
        .size:           16
        .value_kind:     by_value
    .group_segment_fixed_size: 0
    .kernarg_segment_align: 8
    .kernarg_segment_size: 24
    .language:       OpenCL C
    .language_version:
      - 2
      - 0
    .max_flat_workgroup_size: 256
    .name:           _ZN2at6native29vectorized_elementwise_kernelILi4EZZZNS0_12_GLOBAL__N_130modified_bessel_i1_kernel_cudaERNS_18TensorIteratorBaseEENKUlvE_clEvENKUlvE_clEvEUldE_St5arrayIPcLm2EEEEviT0_T1_
    .private_segment_fixed_size: 0
    .sgpr_count:     37
    .sgpr_spill_count: 0
    .symbol:         _ZN2at6native29vectorized_elementwise_kernelILi4EZZZNS0_12_GLOBAL__N_130modified_bessel_i1_kernel_cudaERNS_18TensorIteratorBaseEENKUlvE_clEvENKUlvE_clEvEUldE_St5arrayIPcLm2EEEEviT0_T1_.kd
    .uniform_work_group_size: 1
    .uses_dynamic_stack: false
    .vgpr_count:     32
    .vgpr_spill_count: 0
    .wavefront_size: 64
  - .args:
      - .offset:         0
        .size:           4
        .value_kind:     by_value
      - .offset:         4
        .size:           1
        .value_kind:     by_value
      - .offset:         8
        .size:           16
        .value_kind:     by_value
    .group_segment_fixed_size: 0
    .kernarg_segment_align: 8
    .kernarg_segment_size: 24
    .language:       OpenCL C
    .language_version:
      - 2
      - 0
    .max_flat_workgroup_size: 256
    .name:           _ZN2at6native29vectorized_elementwise_kernelILi2EZZZNS0_12_GLOBAL__N_130modified_bessel_i1_kernel_cudaERNS_18TensorIteratorBaseEENKUlvE_clEvENKUlvE_clEvEUldE_St5arrayIPcLm2EEEEviT0_T1_
    .private_segment_fixed_size: 0
    .sgpr_count:     37
    .sgpr_spill_count: 0
    .symbol:         _ZN2at6native29vectorized_elementwise_kernelILi2EZZZNS0_12_GLOBAL__N_130modified_bessel_i1_kernel_cudaERNS_18TensorIteratorBaseEENKUlvE_clEvENKUlvE_clEvEUldE_St5arrayIPcLm2EEEEviT0_T1_.kd
    .uniform_work_group_size: 1
    .uses_dynamic_stack: false
    .vgpr_count:     32
    .vgpr_spill_count: 0
    .wavefront_size: 64
  - .args:
      - .offset:         0
        .size:           4
        .value_kind:     by_value
      - .offset:         4
        .size:           1
        .value_kind:     by_value
      - .offset:         8
        .size:           16
        .value_kind:     by_value
      - .offset:         24
        .size:           1
        .value_kind:     by_value
      - .offset:         25
        .size:           1
        .value_kind:     by_value
      - .offset:         26
        .size:           1
        .value_kind:     by_value
      - .offset:         27
        .size:           1
        .value_kind:     by_value
    .group_segment_fixed_size: 0
    .kernarg_segment_align: 8
    .kernarg_segment_size: 28
    .language:       OpenCL C
    .language_version:
      - 2
      - 0
    .max_flat_workgroup_size: 256
    .name:           _ZN2at6native27unrolled_elementwise_kernelIZZZNS0_12_GLOBAL__N_130modified_bessel_i1_kernel_cudaERNS_18TensorIteratorBaseEENKUlvE_clEvENKUlvE_clEvEUldE_St5arrayIPcLm2EELi4E23TrivialOffsetCalculatorILi1EjESC_NS0_6memory15LoadWithoutCastENSD_16StoreWithoutCastEEEviT_T0_T2_T3_T4_T5_
    .private_segment_fixed_size: 0
    .sgpr_count:     37
    .sgpr_spill_count: 0
    .symbol:         _ZN2at6native27unrolled_elementwise_kernelIZZZNS0_12_GLOBAL__N_130modified_bessel_i1_kernel_cudaERNS_18TensorIteratorBaseEENKUlvE_clEvENKUlvE_clEvEUldE_St5arrayIPcLm2EELi4E23TrivialOffsetCalculatorILi1EjESC_NS0_6memory15LoadWithoutCastENSD_16StoreWithoutCastEEEviT_T0_T2_T3_T4_T5_.kd
    .uniform_work_group_size: 1
    .uses_dynamic_stack: false
    .vgpr_count:     32
    .vgpr_spill_count: 0
    .wavefront_size: 64
  - .args:
      - .offset:         0
        .size:           4
        .value_kind:     by_value
      - .offset:         8
        .size:           352
        .value_kind:     by_value
    .group_segment_fixed_size: 0
    .kernarg_segment_align: 8
    .kernarg_segment_size: 360
    .language:       OpenCL C
    .language_version:
      - 2
      - 0
    .max_flat_workgroup_size: 128
    .name:           _ZN2at6native32elementwise_kernel_manual_unrollILi128ELi4EZNS0_22gpu_kernel_impl_nocastIZZZNS0_12_GLOBAL__N_130modified_bessel_i1_kernel_cudaERNS_18TensorIteratorBaseEENKUlvE_clEvENKUlvE_clEvEUldE_EEvS5_RKT_EUlibE_EEviT1_
    .private_segment_fixed_size: 0
    .sgpr_count:     64
    .sgpr_spill_count: 0
    .symbol:         _ZN2at6native32elementwise_kernel_manual_unrollILi128ELi4EZNS0_22gpu_kernel_impl_nocastIZZZNS0_12_GLOBAL__N_130modified_bessel_i1_kernel_cudaERNS_18TensorIteratorBaseEENKUlvE_clEvENKUlvE_clEvEUldE_EEvS5_RKT_EUlibE_EEviT1_.kd
    .uniform_work_group_size: 1
    .uses_dynamic_stack: false
    .vgpr_count:     25
    .vgpr_spill_count: 0
    .wavefront_size: 64
  - .args:
      - .offset:         0
        .size:           4
        .value_kind:     by_value
      - .offset:         8
        .size:           32
        .value_kind:     by_value
    .group_segment_fixed_size: 0
    .kernarg_segment_align: 8
    .kernarg_segment_size: 40
    .language:       OpenCL C
    .language_version:
      - 2
      - 0
    .max_flat_workgroup_size: 128
    .name:           _ZN2at6native32elementwise_kernel_manual_unrollILi128ELi4EZNS0_15gpu_kernel_implIZZZNS0_12_GLOBAL__N_130modified_bessel_i1_kernel_cudaERNS_18TensorIteratorBaseEENKUlvE_clEvENKUlvE_clEvEUldE_EEvS5_RKT_EUlibE_EEviT1_
    .private_segment_fixed_size: 0
    .sgpr_count:     48
    .sgpr_spill_count: 0
    .symbol:         _ZN2at6native32elementwise_kernel_manual_unrollILi128ELi4EZNS0_15gpu_kernel_implIZZZNS0_12_GLOBAL__N_130modified_bessel_i1_kernel_cudaERNS_18TensorIteratorBaseEENKUlvE_clEvENKUlvE_clEvEUldE_EEvS5_RKT_EUlibE_EEviT1_.kd
    .uniform_work_group_size: 1
    .uses_dynamic_stack: false
    .vgpr_count:     21
    .vgpr_spill_count: 0
    .wavefront_size: 64
  - .args:
      - .offset:         0
        .size:           4
        .value_kind:     by_value
      - .offset:         8
        .size:           352
        .value_kind:     by_value
    .group_segment_fixed_size: 0
    .kernarg_segment_align: 8
    .kernarg_segment_size: 360
    .language:       OpenCL C
    .language_version:
      - 2
      - 0
    .max_flat_workgroup_size: 128
    .name:           _ZN2at6native32elementwise_kernel_manual_unrollILi128ELi4EZNS0_15gpu_kernel_implIZZZNS0_12_GLOBAL__N_130modified_bessel_i1_kernel_cudaERNS_18TensorIteratorBaseEENKUlvE_clEvENKUlvE_clEvEUldE_EEvS5_RKT_EUlibE0_EEviT1_
    .private_segment_fixed_size: 0
    .sgpr_count:     82
    .sgpr_spill_count: 0
    .symbol:         _ZN2at6native32elementwise_kernel_manual_unrollILi128ELi4EZNS0_15gpu_kernel_implIZZZNS0_12_GLOBAL__N_130modified_bessel_i1_kernel_cudaERNS_18TensorIteratorBaseEENKUlvE_clEvENKUlvE_clEvEUldE_EEvS5_RKT_EUlibE0_EEviT1_.kd
    .uniform_work_group_size: 1
    .uses_dynamic_stack: false
    .vgpr_count:     27
    .vgpr_spill_count: 0
    .wavefront_size: 64
  - .args:
      - .offset:         0
        .size:           4
        .value_kind:     by_value
      - .offset:         4
        .size:           1
        .value_kind:     by_value
      - .offset:         8
        .size:           16
        .value_kind:     by_value
    .group_segment_fixed_size: 0
    .kernarg_segment_align: 8
    .kernarg_segment_size: 24
    .language:       OpenCL C
    .language_version:
      - 2
      - 0
    .max_flat_workgroup_size: 256
    .name:           _ZN2at6native29vectorized_elementwise_kernelILi16EZZZNS0_12_GLOBAL__N_130modified_bessel_i1_kernel_cudaERNS_18TensorIteratorBaseEENKUlvE_clEvENKUlvE0_clEvEUlfE_St5arrayIPcLm2EEEEviT0_T1_
    .private_segment_fixed_size: 0
    .sgpr_count:     37
    .sgpr_spill_count: 0
    .symbol:         _ZN2at6native29vectorized_elementwise_kernelILi16EZZZNS0_12_GLOBAL__N_130modified_bessel_i1_kernel_cudaERNS_18TensorIteratorBaseEENKUlvE_clEvENKUlvE0_clEvEUlfE_St5arrayIPcLm2EEEEviT0_T1_.kd
    .uniform_work_group_size: 1
    .uses_dynamic_stack: false
    .vgpr_count:     32
    .vgpr_spill_count: 0
    .wavefront_size: 64
  - .args:
      - .offset:         0
        .size:           4
        .value_kind:     by_value
      - .offset:         4
        .size:           1
        .value_kind:     by_value
      - .offset:         8
        .size:           16
        .value_kind:     by_value
    .group_segment_fixed_size: 0
    .kernarg_segment_align: 8
    .kernarg_segment_size: 24
    .language:       OpenCL C
    .language_version:
      - 2
      - 0
    .max_flat_workgroup_size: 256
    .name:           _ZN2at6native29vectorized_elementwise_kernelILi8EZZZNS0_12_GLOBAL__N_130modified_bessel_i1_kernel_cudaERNS_18TensorIteratorBaseEENKUlvE_clEvENKUlvE0_clEvEUlfE_St5arrayIPcLm2EEEEviT0_T1_
    .private_segment_fixed_size: 0
    .sgpr_count:     37
    .sgpr_spill_count: 0
    .symbol:         _ZN2at6native29vectorized_elementwise_kernelILi8EZZZNS0_12_GLOBAL__N_130modified_bessel_i1_kernel_cudaERNS_18TensorIteratorBaseEENKUlvE_clEvENKUlvE0_clEvEUlfE_St5arrayIPcLm2EEEEviT0_T1_.kd
    .uniform_work_group_size: 1
    .uses_dynamic_stack: false
    .vgpr_count:     32
    .vgpr_spill_count: 0
    .wavefront_size: 64
  - .args:
      - .offset:         0
        .size:           4
        .value_kind:     by_value
      - .offset:         4
        .size:           1
        .value_kind:     by_value
      - .offset:         8
        .size:           16
        .value_kind:     by_value
    .group_segment_fixed_size: 0
    .kernarg_segment_align: 8
    .kernarg_segment_size: 24
    .language:       OpenCL C
    .language_version:
      - 2
      - 0
    .max_flat_workgroup_size: 256
    .name:           _ZN2at6native29vectorized_elementwise_kernelILi4EZZZNS0_12_GLOBAL__N_130modified_bessel_i1_kernel_cudaERNS_18TensorIteratorBaseEENKUlvE_clEvENKUlvE0_clEvEUlfE_St5arrayIPcLm2EEEEviT0_T1_
    .private_segment_fixed_size: 0
    .sgpr_count:     37
    .sgpr_spill_count: 0
    .symbol:         _ZN2at6native29vectorized_elementwise_kernelILi4EZZZNS0_12_GLOBAL__N_130modified_bessel_i1_kernel_cudaERNS_18TensorIteratorBaseEENKUlvE_clEvENKUlvE0_clEvEUlfE_St5arrayIPcLm2EEEEviT0_T1_.kd
    .uniform_work_group_size: 1
    .uses_dynamic_stack: false
    .vgpr_count:     32
    .vgpr_spill_count: 0
    .wavefront_size: 64
  - .args:
      - .offset:         0
        .size:           4
        .value_kind:     by_value
      - .offset:         4
        .size:           1
        .value_kind:     by_value
      - .offset:         8
        .size:           16
        .value_kind:     by_value
    .group_segment_fixed_size: 0
    .kernarg_segment_align: 8
    .kernarg_segment_size: 24
    .language:       OpenCL C
    .language_version:
      - 2
      - 0
    .max_flat_workgroup_size: 256
    .name:           _ZN2at6native29vectorized_elementwise_kernelILi2EZZZNS0_12_GLOBAL__N_130modified_bessel_i1_kernel_cudaERNS_18TensorIteratorBaseEENKUlvE_clEvENKUlvE0_clEvEUlfE_St5arrayIPcLm2EEEEviT0_T1_
    .private_segment_fixed_size: 0
    .sgpr_count:     37
    .sgpr_spill_count: 0
    .symbol:         _ZN2at6native29vectorized_elementwise_kernelILi2EZZZNS0_12_GLOBAL__N_130modified_bessel_i1_kernel_cudaERNS_18TensorIteratorBaseEENKUlvE_clEvENKUlvE0_clEvEUlfE_St5arrayIPcLm2EEEEviT0_T1_.kd
    .uniform_work_group_size: 1
    .uses_dynamic_stack: false
    .vgpr_count:     32
    .vgpr_spill_count: 0
    .wavefront_size: 64
  - .args:
      - .offset:         0
        .size:           4
        .value_kind:     by_value
      - .offset:         4
        .size:           1
        .value_kind:     by_value
      - .offset:         8
        .size:           16
        .value_kind:     by_value
      - .offset:         24
        .size:           1
        .value_kind:     by_value
      - .offset:         25
        .size:           1
        .value_kind:     by_value
      - .offset:         26
        .size:           1
        .value_kind:     by_value
      - .offset:         27
        .size:           1
        .value_kind:     by_value
    .group_segment_fixed_size: 0
    .kernarg_segment_align: 8
    .kernarg_segment_size: 28
    .language:       OpenCL C
    .language_version:
      - 2
      - 0
    .max_flat_workgroup_size: 256
    .name:           _ZN2at6native27unrolled_elementwise_kernelIZZZNS0_12_GLOBAL__N_130modified_bessel_i1_kernel_cudaERNS_18TensorIteratorBaseEENKUlvE_clEvENKUlvE0_clEvEUlfE_St5arrayIPcLm2EELi4E23TrivialOffsetCalculatorILi1EjESC_NS0_6memory15LoadWithoutCastENSD_16StoreWithoutCastEEEviT_T0_T2_T3_T4_T5_
    .private_segment_fixed_size: 0
    .sgpr_count:     37
    .sgpr_spill_count: 0
    .symbol:         _ZN2at6native27unrolled_elementwise_kernelIZZZNS0_12_GLOBAL__N_130modified_bessel_i1_kernel_cudaERNS_18TensorIteratorBaseEENKUlvE_clEvENKUlvE0_clEvEUlfE_St5arrayIPcLm2EELi4E23TrivialOffsetCalculatorILi1EjESC_NS0_6memory15LoadWithoutCastENSD_16StoreWithoutCastEEEviT_T0_T2_T3_T4_T5_.kd
    .uniform_work_group_size: 1
    .uses_dynamic_stack: false
    .vgpr_count:     32
    .vgpr_spill_count: 0
    .wavefront_size: 64
  - .args:
      - .offset:         0
        .size:           4
        .value_kind:     by_value
      - .offset:         8
        .size:           352
        .value_kind:     by_value
    .group_segment_fixed_size: 0
    .kernarg_segment_align: 8
    .kernarg_segment_size: 360
    .language:       OpenCL C
    .language_version:
      - 2
      - 0
    .max_flat_workgroup_size: 128
    .name:           _ZN2at6native32elementwise_kernel_manual_unrollILi128ELi4EZNS0_22gpu_kernel_impl_nocastIZZZNS0_12_GLOBAL__N_130modified_bessel_i1_kernel_cudaERNS_18TensorIteratorBaseEENKUlvE_clEvENKUlvE0_clEvEUlfE_EEvS5_RKT_EUlibE_EEviT1_
    .private_segment_fixed_size: 0
    .sgpr_count:     64
    .sgpr_spill_count: 0
    .symbol:         _ZN2at6native32elementwise_kernel_manual_unrollILi128ELi4EZNS0_22gpu_kernel_impl_nocastIZZZNS0_12_GLOBAL__N_130modified_bessel_i1_kernel_cudaERNS_18TensorIteratorBaseEENKUlvE_clEvENKUlvE0_clEvEUlfE_EEvS5_RKT_EUlibE_EEviT1_.kd
    .uniform_work_group_size: 1
    .uses_dynamic_stack: false
    .vgpr_count:     18
    .vgpr_spill_count: 0
    .wavefront_size: 64
  - .args:
      - .offset:         0
        .size:           4
        .value_kind:     by_value
      - .offset:         8
        .size:           32
        .value_kind:     by_value
    .group_segment_fixed_size: 0
    .kernarg_segment_align: 8
    .kernarg_segment_size: 40
    .language:       OpenCL C
    .language_version:
      - 2
      - 0
    .max_flat_workgroup_size: 128
    .name:           _ZN2at6native32elementwise_kernel_manual_unrollILi128ELi4EZNS0_15gpu_kernel_implIZZZNS0_12_GLOBAL__N_130modified_bessel_i1_kernel_cudaERNS_18TensorIteratorBaseEENKUlvE_clEvENKUlvE0_clEvEUlfE_EEvS5_RKT_EUlibE_EEviT1_
    .private_segment_fixed_size: 0
    .sgpr_count:     48
    .sgpr_spill_count: 0
    .symbol:         _ZN2at6native32elementwise_kernel_manual_unrollILi128ELi4EZNS0_15gpu_kernel_implIZZZNS0_12_GLOBAL__N_130modified_bessel_i1_kernel_cudaERNS_18TensorIteratorBaseEENKUlvE_clEvENKUlvE0_clEvEUlfE_EEvS5_RKT_EUlibE_EEviT1_.kd
    .uniform_work_group_size: 1
    .uses_dynamic_stack: false
    .vgpr_count:     13
    .vgpr_spill_count: 0
    .wavefront_size: 64
  - .args:
      - .offset:         0
        .size:           4
        .value_kind:     by_value
      - .offset:         8
        .size:           352
        .value_kind:     by_value
    .group_segment_fixed_size: 0
    .kernarg_segment_align: 8
    .kernarg_segment_size: 360
    .language:       OpenCL C
    .language_version:
      - 2
      - 0
    .max_flat_workgroup_size: 128
    .name:           _ZN2at6native32elementwise_kernel_manual_unrollILi128ELi4EZNS0_15gpu_kernel_implIZZZNS0_12_GLOBAL__N_130modified_bessel_i1_kernel_cudaERNS_18TensorIteratorBaseEENKUlvE_clEvENKUlvE0_clEvEUlfE_EEvS5_RKT_EUlibE0_EEviT1_
    .private_segment_fixed_size: 0
    .sgpr_count:     82
    .sgpr_spill_count: 0
    .symbol:         _ZN2at6native32elementwise_kernel_manual_unrollILi128ELi4EZNS0_15gpu_kernel_implIZZZNS0_12_GLOBAL__N_130modified_bessel_i1_kernel_cudaERNS_18TensorIteratorBaseEENKUlvE_clEvENKUlvE0_clEvEUlfE_EEvS5_RKT_EUlibE0_EEviT1_.kd
    .uniform_work_group_size: 1
    .uses_dynamic_stack: false
    .vgpr_count:     18
    .vgpr_spill_count: 0
    .wavefront_size: 64
amdhsa.target:   amdgcn-amd-amdhsa--gfx906
amdhsa.version:
  - 1
  - 2
...

	.end_amdgpu_metadata
